;; amdgpu-corpus repo=pytorch/pytorch kind=compiled arch=gfx90a opt=O3
	.text
	.amdgcn_target "amdgcn-amd-amdhsa--gfx90a"
	.amdhsa_code_object_version 6
	.section	.text._ZN7rocprim17ROCPRIM_400000_NS6detail31init_lookback_scan_state_kernelINS1_19lookback_scan_stateIjLb0ELb1EEENS1_16block_id_wrapperIjLb0EEEEEvT_jT0_jPNS7_10value_typeE,"axG",@progbits,_ZN7rocprim17ROCPRIM_400000_NS6detail31init_lookback_scan_state_kernelINS1_19lookback_scan_stateIjLb0ELb1EEENS1_16block_id_wrapperIjLb0EEEEEvT_jT0_jPNS7_10value_typeE,comdat
	.protected	_ZN7rocprim17ROCPRIM_400000_NS6detail31init_lookback_scan_state_kernelINS1_19lookback_scan_stateIjLb0ELb1EEENS1_16block_id_wrapperIjLb0EEEEEvT_jT0_jPNS7_10value_typeE ; -- Begin function _ZN7rocprim17ROCPRIM_400000_NS6detail31init_lookback_scan_state_kernelINS1_19lookback_scan_stateIjLb0ELb1EEENS1_16block_id_wrapperIjLb0EEEEEvT_jT0_jPNS7_10value_typeE
	.globl	_ZN7rocprim17ROCPRIM_400000_NS6detail31init_lookback_scan_state_kernelINS1_19lookback_scan_stateIjLb0ELb1EEENS1_16block_id_wrapperIjLb0EEEEEvT_jT0_jPNS7_10value_typeE
	.p2align	8
	.type	_ZN7rocprim17ROCPRIM_400000_NS6detail31init_lookback_scan_state_kernelINS1_19lookback_scan_stateIjLb0ELb1EEENS1_16block_id_wrapperIjLb0EEEEEvT_jT0_jPNS7_10value_typeE,@function
_ZN7rocprim17ROCPRIM_400000_NS6detail31init_lookback_scan_state_kernelINS1_19lookback_scan_stateIjLb0ELb1EEENS1_16block_id_wrapperIjLb0EEEEEvT_jT0_jPNS7_10value_typeE: ; @_ZN7rocprim17ROCPRIM_400000_NS6detail31init_lookback_scan_state_kernelINS1_19lookback_scan_stateIjLb0ELb1EEENS1_16block_id_wrapperIjLb0EEEEEvT_jT0_jPNS7_10value_typeE
; %bb.0:
	s_load_dword s7, s[4:5], 0x2c
	s_load_dwordx2 s[2:3], s[4:5], 0x18
	s_load_dwordx2 s[0:1], s[4:5], 0x0
	s_load_dword s8, s[4:5], 0x8
	s_waitcnt lgkmcnt(0)
	s_and_b32 s7, s7, 0xffff
	s_mul_i32 s6, s6, s7
	s_cmp_eq_u64 s[2:3], 0
	v_add_u32_e32 v0, s6, v0
	s_cbranch_scc1 .LBB0_6
; %bb.1:
	s_load_dword s6, s[4:5], 0x10
	s_mov_b32 s7, 0
	s_waitcnt lgkmcnt(0)
	s_cmp_lt_u32 s6, s8
	s_cselect_b32 s4, s6, 0
	v_cmp_eq_u32_e32 vcc, s4, v0
	s_and_saveexec_b64 s[4:5], vcc
	s_cbranch_execz .LBB0_5
; %bb.2:
	s_add_i32 s6, s6, 64
	s_lshl_b64 s[6:7], s[6:7], 3
	s_add_u32 s6, s0, s6
	s_addc_u32 s7, s1, s7
	v_mov_b32_e32 v4, 0
	global_load_dwordx2 v[2:3], v4, s[6:7] glc
	s_waitcnt vmcnt(0)
	v_and_b32_e32 v5, 0xff, v3
	v_cmp_ne_u64_e32 vcc, 0, v[4:5]
	s_cbranch_vccnz .LBB0_4
.LBB0_3:                                ; =>This Inner Loop Header: Depth=1
	global_load_dwordx2 v[2:3], v4, s[6:7] glc
	s_waitcnt vmcnt(0)
	v_and_b32_e32 v5, 0xff, v3
	v_cmp_eq_u64_e32 vcc, 0, v[4:5]
	s_cbranch_vccnz .LBB0_3
.LBB0_4:
	v_mov_b32_e32 v1, 0
	global_store_dword v1, v2, s[2:3]
.LBB0_5:
	s_or_b64 exec, exec, s[4:5]
.LBB0_6:
	v_cmp_gt_u32_e32 vcc, s8, v0
	s_and_saveexec_b64 s[2:3], vcc
	s_cbranch_execnz .LBB0_9
; %bb.7:
	s_or_b64 exec, exec, s[2:3]
	v_cmp_gt_u32_e32 vcc, 64, v0
	s_and_saveexec_b64 s[2:3], vcc
	s_cbranch_execnz .LBB0_10
.LBB0_8:
	s_endpgm
.LBB0_9:
	v_add_u32_e32 v2, 64, v0
	v_mov_b32_e32 v3, 0
	v_lshlrev_b64 v[4:5], 3, v[2:3]
	v_mov_b32_e32 v1, s1
	v_add_co_u32_e32 v4, vcc, s0, v4
	v_addc_co_u32_e32 v5, vcc, v1, v5, vcc
	v_mov_b32_e32 v2, v3
	global_store_dwordx2 v[4:5], v[2:3], off
	s_or_b64 exec, exec, s[2:3]
	v_cmp_gt_u32_e32 vcc, 64, v0
	s_and_saveexec_b64 s[2:3], vcc
	s_cbranch_execz .LBB0_8
.LBB0_10:
	v_mov_b32_e32 v1, 0
	v_lshlrev_b64 v[2:3], 3, v[0:1]
	v_mov_b32_e32 v0, s1
	v_add_co_u32_e32 v2, vcc, s0, v2
	v_addc_co_u32_e32 v3, vcc, v0, v3, vcc
	v_mov_b32_e32 v5, 0xff
	v_mov_b32_e32 v4, v1
	global_store_dwordx2 v[2:3], v[4:5], off
	s_endpgm
	.section	.rodata,"a",@progbits
	.p2align	6, 0x0
	.amdhsa_kernel _ZN7rocprim17ROCPRIM_400000_NS6detail31init_lookback_scan_state_kernelINS1_19lookback_scan_stateIjLb0ELb1EEENS1_16block_id_wrapperIjLb0EEEEEvT_jT0_jPNS7_10value_typeE
		.amdhsa_group_segment_fixed_size 0
		.amdhsa_private_segment_fixed_size 0
		.amdhsa_kernarg_size 288
		.amdhsa_user_sgpr_count 6
		.amdhsa_user_sgpr_private_segment_buffer 1
		.amdhsa_user_sgpr_dispatch_ptr 0
		.amdhsa_user_sgpr_queue_ptr 0
		.amdhsa_user_sgpr_kernarg_segment_ptr 1
		.amdhsa_user_sgpr_dispatch_id 0
		.amdhsa_user_sgpr_flat_scratch_init 0
		.amdhsa_user_sgpr_kernarg_preload_length 0
		.amdhsa_user_sgpr_kernarg_preload_offset 0
		.amdhsa_user_sgpr_private_segment_size 0
		.amdhsa_uses_dynamic_stack 0
		.amdhsa_system_sgpr_private_segment_wavefront_offset 0
		.amdhsa_system_sgpr_workgroup_id_x 1
		.amdhsa_system_sgpr_workgroup_id_y 0
		.amdhsa_system_sgpr_workgroup_id_z 0
		.amdhsa_system_sgpr_workgroup_info 0
		.amdhsa_system_vgpr_workitem_id 0
		.amdhsa_next_free_vgpr 6
		.amdhsa_next_free_sgpr 9
		.amdhsa_accum_offset 8
		.amdhsa_reserve_vcc 1
		.amdhsa_reserve_flat_scratch 0
		.amdhsa_float_round_mode_32 0
		.amdhsa_float_round_mode_16_64 0
		.amdhsa_float_denorm_mode_32 3
		.amdhsa_float_denorm_mode_16_64 3
		.amdhsa_dx10_clamp 1
		.amdhsa_ieee_mode 1
		.amdhsa_fp16_overflow 0
		.amdhsa_tg_split 0
		.amdhsa_exception_fp_ieee_invalid_op 0
		.amdhsa_exception_fp_denorm_src 0
		.amdhsa_exception_fp_ieee_div_zero 0
		.amdhsa_exception_fp_ieee_overflow 0
		.amdhsa_exception_fp_ieee_underflow 0
		.amdhsa_exception_fp_ieee_inexact 0
		.amdhsa_exception_int_div_zero 0
	.end_amdhsa_kernel
	.section	.text._ZN7rocprim17ROCPRIM_400000_NS6detail31init_lookback_scan_state_kernelINS1_19lookback_scan_stateIjLb0ELb1EEENS1_16block_id_wrapperIjLb0EEEEEvT_jT0_jPNS7_10value_typeE,"axG",@progbits,_ZN7rocprim17ROCPRIM_400000_NS6detail31init_lookback_scan_state_kernelINS1_19lookback_scan_stateIjLb0ELb1EEENS1_16block_id_wrapperIjLb0EEEEEvT_jT0_jPNS7_10value_typeE,comdat
.Lfunc_end0:
	.size	_ZN7rocprim17ROCPRIM_400000_NS6detail31init_lookback_scan_state_kernelINS1_19lookback_scan_stateIjLb0ELb1EEENS1_16block_id_wrapperIjLb0EEEEEvT_jT0_jPNS7_10value_typeE, .Lfunc_end0-_ZN7rocprim17ROCPRIM_400000_NS6detail31init_lookback_scan_state_kernelINS1_19lookback_scan_stateIjLb0ELb1EEENS1_16block_id_wrapperIjLb0EEEEEvT_jT0_jPNS7_10value_typeE
                                        ; -- End function
	.section	.AMDGPU.csdata,"",@progbits
; Kernel info:
; codeLenInByte = 324
; NumSgprs: 13
; NumVgprs: 6
; NumAgprs: 0
; TotalNumVgprs: 6
; ScratchSize: 0
; MemoryBound: 0
; FloatMode: 240
; IeeeMode: 1
; LDSByteSize: 0 bytes/workgroup (compile time only)
; SGPRBlocks: 1
; VGPRBlocks: 0
; NumSGPRsForWavesPerEU: 13
; NumVGPRsForWavesPerEU: 6
; AccumOffset: 8
; Occupancy: 8
; WaveLimiterHint : 0
; COMPUTE_PGM_RSRC2:SCRATCH_EN: 0
; COMPUTE_PGM_RSRC2:USER_SGPR: 6
; COMPUTE_PGM_RSRC2:TRAP_HANDLER: 0
; COMPUTE_PGM_RSRC2:TGID_X_EN: 1
; COMPUTE_PGM_RSRC2:TGID_Y_EN: 0
; COMPUTE_PGM_RSRC2:TGID_Z_EN: 0
; COMPUTE_PGM_RSRC2:TIDIG_COMP_CNT: 0
; COMPUTE_PGM_RSRC3_GFX90A:ACCUM_OFFSET: 1
; COMPUTE_PGM_RSRC3_GFX90A:TG_SPLIT: 0
	.section	.text._ZN7rocprim17ROCPRIM_400000_NS6detail17trampoline_kernelINS0_14default_configENS1_25partition_config_selectorILNS1_17partition_subalgoE9EiibEEZZNS1_14partition_implILS5_9ELb0ES3_jPKiN6thrust23THRUST_200600_302600_NS17counting_iteratorIiNSB_11use_defaultESD_SD_EEPNS0_10empty_typeENS0_5tupleIJPiSF_EEENSH_IJSI_SG_EEENS0_18inequality_wrapperIN6hipcub16HIPCUB_304000_NS8EqualityEEEPlJSF_EEE10hipError_tPvRmT3_T4_T5_T6_T7_T9_mT8_P12ihipStream_tbDpT10_ENKUlT_T0_E_clISt17integral_constantIbLb0EES1A_EEDaS15_S16_EUlS15_E_NS1_11comp_targetILNS1_3genE0ELNS1_11target_archE4294967295ELNS1_3gpuE0ELNS1_3repE0EEENS1_30default_config_static_selectorELNS0_4arch9wavefront6targetE1EEEvT1_,"axG",@progbits,_ZN7rocprim17ROCPRIM_400000_NS6detail17trampoline_kernelINS0_14default_configENS1_25partition_config_selectorILNS1_17partition_subalgoE9EiibEEZZNS1_14partition_implILS5_9ELb0ES3_jPKiN6thrust23THRUST_200600_302600_NS17counting_iteratorIiNSB_11use_defaultESD_SD_EEPNS0_10empty_typeENS0_5tupleIJPiSF_EEENSH_IJSI_SG_EEENS0_18inequality_wrapperIN6hipcub16HIPCUB_304000_NS8EqualityEEEPlJSF_EEE10hipError_tPvRmT3_T4_T5_T6_T7_T9_mT8_P12ihipStream_tbDpT10_ENKUlT_T0_E_clISt17integral_constantIbLb0EES1A_EEDaS15_S16_EUlS15_E_NS1_11comp_targetILNS1_3genE0ELNS1_11target_archE4294967295ELNS1_3gpuE0ELNS1_3repE0EEENS1_30default_config_static_selectorELNS0_4arch9wavefront6targetE1EEEvT1_,comdat
	.protected	_ZN7rocprim17ROCPRIM_400000_NS6detail17trampoline_kernelINS0_14default_configENS1_25partition_config_selectorILNS1_17partition_subalgoE9EiibEEZZNS1_14partition_implILS5_9ELb0ES3_jPKiN6thrust23THRUST_200600_302600_NS17counting_iteratorIiNSB_11use_defaultESD_SD_EEPNS0_10empty_typeENS0_5tupleIJPiSF_EEENSH_IJSI_SG_EEENS0_18inequality_wrapperIN6hipcub16HIPCUB_304000_NS8EqualityEEEPlJSF_EEE10hipError_tPvRmT3_T4_T5_T6_T7_T9_mT8_P12ihipStream_tbDpT10_ENKUlT_T0_E_clISt17integral_constantIbLb0EES1A_EEDaS15_S16_EUlS15_E_NS1_11comp_targetILNS1_3genE0ELNS1_11target_archE4294967295ELNS1_3gpuE0ELNS1_3repE0EEENS1_30default_config_static_selectorELNS0_4arch9wavefront6targetE1EEEvT1_ ; -- Begin function _ZN7rocprim17ROCPRIM_400000_NS6detail17trampoline_kernelINS0_14default_configENS1_25partition_config_selectorILNS1_17partition_subalgoE9EiibEEZZNS1_14partition_implILS5_9ELb0ES3_jPKiN6thrust23THRUST_200600_302600_NS17counting_iteratorIiNSB_11use_defaultESD_SD_EEPNS0_10empty_typeENS0_5tupleIJPiSF_EEENSH_IJSI_SG_EEENS0_18inequality_wrapperIN6hipcub16HIPCUB_304000_NS8EqualityEEEPlJSF_EEE10hipError_tPvRmT3_T4_T5_T6_T7_T9_mT8_P12ihipStream_tbDpT10_ENKUlT_T0_E_clISt17integral_constantIbLb0EES1A_EEDaS15_S16_EUlS15_E_NS1_11comp_targetILNS1_3genE0ELNS1_11target_archE4294967295ELNS1_3gpuE0ELNS1_3repE0EEENS1_30default_config_static_selectorELNS0_4arch9wavefront6targetE1EEEvT1_
	.globl	_ZN7rocprim17ROCPRIM_400000_NS6detail17trampoline_kernelINS0_14default_configENS1_25partition_config_selectorILNS1_17partition_subalgoE9EiibEEZZNS1_14partition_implILS5_9ELb0ES3_jPKiN6thrust23THRUST_200600_302600_NS17counting_iteratorIiNSB_11use_defaultESD_SD_EEPNS0_10empty_typeENS0_5tupleIJPiSF_EEENSH_IJSI_SG_EEENS0_18inequality_wrapperIN6hipcub16HIPCUB_304000_NS8EqualityEEEPlJSF_EEE10hipError_tPvRmT3_T4_T5_T6_T7_T9_mT8_P12ihipStream_tbDpT10_ENKUlT_T0_E_clISt17integral_constantIbLb0EES1A_EEDaS15_S16_EUlS15_E_NS1_11comp_targetILNS1_3genE0ELNS1_11target_archE4294967295ELNS1_3gpuE0ELNS1_3repE0EEENS1_30default_config_static_selectorELNS0_4arch9wavefront6targetE1EEEvT1_
	.p2align	8
	.type	_ZN7rocprim17ROCPRIM_400000_NS6detail17trampoline_kernelINS0_14default_configENS1_25partition_config_selectorILNS1_17partition_subalgoE9EiibEEZZNS1_14partition_implILS5_9ELb0ES3_jPKiN6thrust23THRUST_200600_302600_NS17counting_iteratorIiNSB_11use_defaultESD_SD_EEPNS0_10empty_typeENS0_5tupleIJPiSF_EEENSH_IJSI_SG_EEENS0_18inequality_wrapperIN6hipcub16HIPCUB_304000_NS8EqualityEEEPlJSF_EEE10hipError_tPvRmT3_T4_T5_T6_T7_T9_mT8_P12ihipStream_tbDpT10_ENKUlT_T0_E_clISt17integral_constantIbLb0EES1A_EEDaS15_S16_EUlS15_E_NS1_11comp_targetILNS1_3genE0ELNS1_11target_archE4294967295ELNS1_3gpuE0ELNS1_3repE0EEENS1_30default_config_static_selectorELNS0_4arch9wavefront6targetE1EEEvT1_,@function
_ZN7rocprim17ROCPRIM_400000_NS6detail17trampoline_kernelINS0_14default_configENS1_25partition_config_selectorILNS1_17partition_subalgoE9EiibEEZZNS1_14partition_implILS5_9ELb0ES3_jPKiN6thrust23THRUST_200600_302600_NS17counting_iteratorIiNSB_11use_defaultESD_SD_EEPNS0_10empty_typeENS0_5tupleIJPiSF_EEENSH_IJSI_SG_EEENS0_18inequality_wrapperIN6hipcub16HIPCUB_304000_NS8EqualityEEEPlJSF_EEE10hipError_tPvRmT3_T4_T5_T6_T7_T9_mT8_P12ihipStream_tbDpT10_ENKUlT_T0_E_clISt17integral_constantIbLb0EES1A_EEDaS15_S16_EUlS15_E_NS1_11comp_targetILNS1_3genE0ELNS1_11target_archE4294967295ELNS1_3gpuE0ELNS1_3repE0EEENS1_30default_config_static_selectorELNS0_4arch9wavefront6targetE1EEEvT1_: ; @_ZN7rocprim17ROCPRIM_400000_NS6detail17trampoline_kernelINS0_14default_configENS1_25partition_config_selectorILNS1_17partition_subalgoE9EiibEEZZNS1_14partition_implILS5_9ELb0ES3_jPKiN6thrust23THRUST_200600_302600_NS17counting_iteratorIiNSB_11use_defaultESD_SD_EEPNS0_10empty_typeENS0_5tupleIJPiSF_EEENSH_IJSI_SG_EEENS0_18inequality_wrapperIN6hipcub16HIPCUB_304000_NS8EqualityEEEPlJSF_EEE10hipError_tPvRmT3_T4_T5_T6_T7_T9_mT8_P12ihipStream_tbDpT10_ENKUlT_T0_E_clISt17integral_constantIbLb0EES1A_EEDaS15_S16_EUlS15_E_NS1_11comp_targetILNS1_3genE0ELNS1_11target_archE4294967295ELNS1_3gpuE0ELNS1_3repE0EEENS1_30default_config_static_selectorELNS0_4arch9wavefront6targetE1EEEvT1_
; %bb.0:
	.section	.rodata,"a",@progbits
	.p2align	6, 0x0
	.amdhsa_kernel _ZN7rocprim17ROCPRIM_400000_NS6detail17trampoline_kernelINS0_14default_configENS1_25partition_config_selectorILNS1_17partition_subalgoE9EiibEEZZNS1_14partition_implILS5_9ELb0ES3_jPKiN6thrust23THRUST_200600_302600_NS17counting_iteratorIiNSB_11use_defaultESD_SD_EEPNS0_10empty_typeENS0_5tupleIJPiSF_EEENSH_IJSI_SG_EEENS0_18inequality_wrapperIN6hipcub16HIPCUB_304000_NS8EqualityEEEPlJSF_EEE10hipError_tPvRmT3_T4_T5_T6_T7_T9_mT8_P12ihipStream_tbDpT10_ENKUlT_T0_E_clISt17integral_constantIbLb0EES1A_EEDaS15_S16_EUlS15_E_NS1_11comp_targetILNS1_3genE0ELNS1_11target_archE4294967295ELNS1_3gpuE0ELNS1_3repE0EEENS1_30default_config_static_selectorELNS0_4arch9wavefront6targetE1EEEvT1_
		.amdhsa_group_segment_fixed_size 0
		.amdhsa_private_segment_fixed_size 0
		.amdhsa_kernarg_size 112
		.amdhsa_user_sgpr_count 6
		.amdhsa_user_sgpr_private_segment_buffer 1
		.amdhsa_user_sgpr_dispatch_ptr 0
		.amdhsa_user_sgpr_queue_ptr 0
		.amdhsa_user_sgpr_kernarg_segment_ptr 1
		.amdhsa_user_sgpr_dispatch_id 0
		.amdhsa_user_sgpr_flat_scratch_init 0
		.amdhsa_user_sgpr_kernarg_preload_length 0
		.amdhsa_user_sgpr_kernarg_preload_offset 0
		.amdhsa_user_sgpr_private_segment_size 0
		.amdhsa_uses_dynamic_stack 0
		.amdhsa_system_sgpr_private_segment_wavefront_offset 0
		.amdhsa_system_sgpr_workgroup_id_x 1
		.amdhsa_system_sgpr_workgroup_id_y 0
		.amdhsa_system_sgpr_workgroup_id_z 0
		.amdhsa_system_sgpr_workgroup_info 0
		.amdhsa_system_vgpr_workitem_id 0
		.amdhsa_next_free_vgpr 1
		.amdhsa_next_free_sgpr 0
		.amdhsa_accum_offset 4
		.amdhsa_reserve_vcc 0
		.amdhsa_reserve_flat_scratch 0
		.amdhsa_float_round_mode_32 0
		.amdhsa_float_round_mode_16_64 0
		.amdhsa_float_denorm_mode_32 3
		.amdhsa_float_denorm_mode_16_64 3
		.amdhsa_dx10_clamp 1
		.amdhsa_ieee_mode 1
		.amdhsa_fp16_overflow 0
		.amdhsa_tg_split 0
		.amdhsa_exception_fp_ieee_invalid_op 0
		.amdhsa_exception_fp_denorm_src 0
		.amdhsa_exception_fp_ieee_div_zero 0
		.amdhsa_exception_fp_ieee_overflow 0
		.amdhsa_exception_fp_ieee_underflow 0
		.amdhsa_exception_fp_ieee_inexact 0
		.amdhsa_exception_int_div_zero 0
	.end_amdhsa_kernel
	.section	.text._ZN7rocprim17ROCPRIM_400000_NS6detail17trampoline_kernelINS0_14default_configENS1_25partition_config_selectorILNS1_17partition_subalgoE9EiibEEZZNS1_14partition_implILS5_9ELb0ES3_jPKiN6thrust23THRUST_200600_302600_NS17counting_iteratorIiNSB_11use_defaultESD_SD_EEPNS0_10empty_typeENS0_5tupleIJPiSF_EEENSH_IJSI_SG_EEENS0_18inequality_wrapperIN6hipcub16HIPCUB_304000_NS8EqualityEEEPlJSF_EEE10hipError_tPvRmT3_T4_T5_T6_T7_T9_mT8_P12ihipStream_tbDpT10_ENKUlT_T0_E_clISt17integral_constantIbLb0EES1A_EEDaS15_S16_EUlS15_E_NS1_11comp_targetILNS1_3genE0ELNS1_11target_archE4294967295ELNS1_3gpuE0ELNS1_3repE0EEENS1_30default_config_static_selectorELNS0_4arch9wavefront6targetE1EEEvT1_,"axG",@progbits,_ZN7rocprim17ROCPRIM_400000_NS6detail17trampoline_kernelINS0_14default_configENS1_25partition_config_selectorILNS1_17partition_subalgoE9EiibEEZZNS1_14partition_implILS5_9ELb0ES3_jPKiN6thrust23THRUST_200600_302600_NS17counting_iteratorIiNSB_11use_defaultESD_SD_EEPNS0_10empty_typeENS0_5tupleIJPiSF_EEENSH_IJSI_SG_EEENS0_18inequality_wrapperIN6hipcub16HIPCUB_304000_NS8EqualityEEEPlJSF_EEE10hipError_tPvRmT3_T4_T5_T6_T7_T9_mT8_P12ihipStream_tbDpT10_ENKUlT_T0_E_clISt17integral_constantIbLb0EES1A_EEDaS15_S16_EUlS15_E_NS1_11comp_targetILNS1_3genE0ELNS1_11target_archE4294967295ELNS1_3gpuE0ELNS1_3repE0EEENS1_30default_config_static_selectorELNS0_4arch9wavefront6targetE1EEEvT1_,comdat
.Lfunc_end1:
	.size	_ZN7rocprim17ROCPRIM_400000_NS6detail17trampoline_kernelINS0_14default_configENS1_25partition_config_selectorILNS1_17partition_subalgoE9EiibEEZZNS1_14partition_implILS5_9ELb0ES3_jPKiN6thrust23THRUST_200600_302600_NS17counting_iteratorIiNSB_11use_defaultESD_SD_EEPNS0_10empty_typeENS0_5tupleIJPiSF_EEENSH_IJSI_SG_EEENS0_18inequality_wrapperIN6hipcub16HIPCUB_304000_NS8EqualityEEEPlJSF_EEE10hipError_tPvRmT3_T4_T5_T6_T7_T9_mT8_P12ihipStream_tbDpT10_ENKUlT_T0_E_clISt17integral_constantIbLb0EES1A_EEDaS15_S16_EUlS15_E_NS1_11comp_targetILNS1_3genE0ELNS1_11target_archE4294967295ELNS1_3gpuE0ELNS1_3repE0EEENS1_30default_config_static_selectorELNS0_4arch9wavefront6targetE1EEEvT1_, .Lfunc_end1-_ZN7rocprim17ROCPRIM_400000_NS6detail17trampoline_kernelINS0_14default_configENS1_25partition_config_selectorILNS1_17partition_subalgoE9EiibEEZZNS1_14partition_implILS5_9ELb0ES3_jPKiN6thrust23THRUST_200600_302600_NS17counting_iteratorIiNSB_11use_defaultESD_SD_EEPNS0_10empty_typeENS0_5tupleIJPiSF_EEENSH_IJSI_SG_EEENS0_18inequality_wrapperIN6hipcub16HIPCUB_304000_NS8EqualityEEEPlJSF_EEE10hipError_tPvRmT3_T4_T5_T6_T7_T9_mT8_P12ihipStream_tbDpT10_ENKUlT_T0_E_clISt17integral_constantIbLb0EES1A_EEDaS15_S16_EUlS15_E_NS1_11comp_targetILNS1_3genE0ELNS1_11target_archE4294967295ELNS1_3gpuE0ELNS1_3repE0EEENS1_30default_config_static_selectorELNS0_4arch9wavefront6targetE1EEEvT1_
                                        ; -- End function
	.section	.AMDGPU.csdata,"",@progbits
; Kernel info:
; codeLenInByte = 0
; NumSgprs: 4
; NumVgprs: 0
; NumAgprs: 0
; TotalNumVgprs: 0
; ScratchSize: 0
; MemoryBound: 0
; FloatMode: 240
; IeeeMode: 1
; LDSByteSize: 0 bytes/workgroup (compile time only)
; SGPRBlocks: 0
; VGPRBlocks: 0
; NumSGPRsForWavesPerEU: 4
; NumVGPRsForWavesPerEU: 1
; AccumOffset: 4
; Occupancy: 8
; WaveLimiterHint : 0
; COMPUTE_PGM_RSRC2:SCRATCH_EN: 0
; COMPUTE_PGM_RSRC2:USER_SGPR: 6
; COMPUTE_PGM_RSRC2:TRAP_HANDLER: 0
; COMPUTE_PGM_RSRC2:TGID_X_EN: 1
; COMPUTE_PGM_RSRC2:TGID_Y_EN: 0
; COMPUTE_PGM_RSRC2:TGID_Z_EN: 0
; COMPUTE_PGM_RSRC2:TIDIG_COMP_CNT: 0
; COMPUTE_PGM_RSRC3_GFX90A:ACCUM_OFFSET: 0
; COMPUTE_PGM_RSRC3_GFX90A:TG_SPLIT: 0
	.section	.text._ZN7rocprim17ROCPRIM_400000_NS6detail17trampoline_kernelINS0_14default_configENS1_25partition_config_selectorILNS1_17partition_subalgoE9EiibEEZZNS1_14partition_implILS5_9ELb0ES3_jPKiN6thrust23THRUST_200600_302600_NS17counting_iteratorIiNSB_11use_defaultESD_SD_EEPNS0_10empty_typeENS0_5tupleIJPiSF_EEENSH_IJSI_SG_EEENS0_18inequality_wrapperIN6hipcub16HIPCUB_304000_NS8EqualityEEEPlJSF_EEE10hipError_tPvRmT3_T4_T5_T6_T7_T9_mT8_P12ihipStream_tbDpT10_ENKUlT_T0_E_clISt17integral_constantIbLb0EES1A_EEDaS15_S16_EUlS15_E_NS1_11comp_targetILNS1_3genE5ELNS1_11target_archE942ELNS1_3gpuE9ELNS1_3repE0EEENS1_30default_config_static_selectorELNS0_4arch9wavefront6targetE1EEEvT1_,"axG",@progbits,_ZN7rocprim17ROCPRIM_400000_NS6detail17trampoline_kernelINS0_14default_configENS1_25partition_config_selectorILNS1_17partition_subalgoE9EiibEEZZNS1_14partition_implILS5_9ELb0ES3_jPKiN6thrust23THRUST_200600_302600_NS17counting_iteratorIiNSB_11use_defaultESD_SD_EEPNS0_10empty_typeENS0_5tupleIJPiSF_EEENSH_IJSI_SG_EEENS0_18inequality_wrapperIN6hipcub16HIPCUB_304000_NS8EqualityEEEPlJSF_EEE10hipError_tPvRmT3_T4_T5_T6_T7_T9_mT8_P12ihipStream_tbDpT10_ENKUlT_T0_E_clISt17integral_constantIbLb0EES1A_EEDaS15_S16_EUlS15_E_NS1_11comp_targetILNS1_3genE5ELNS1_11target_archE942ELNS1_3gpuE9ELNS1_3repE0EEENS1_30default_config_static_selectorELNS0_4arch9wavefront6targetE1EEEvT1_,comdat
	.protected	_ZN7rocprim17ROCPRIM_400000_NS6detail17trampoline_kernelINS0_14default_configENS1_25partition_config_selectorILNS1_17partition_subalgoE9EiibEEZZNS1_14partition_implILS5_9ELb0ES3_jPKiN6thrust23THRUST_200600_302600_NS17counting_iteratorIiNSB_11use_defaultESD_SD_EEPNS0_10empty_typeENS0_5tupleIJPiSF_EEENSH_IJSI_SG_EEENS0_18inequality_wrapperIN6hipcub16HIPCUB_304000_NS8EqualityEEEPlJSF_EEE10hipError_tPvRmT3_T4_T5_T6_T7_T9_mT8_P12ihipStream_tbDpT10_ENKUlT_T0_E_clISt17integral_constantIbLb0EES1A_EEDaS15_S16_EUlS15_E_NS1_11comp_targetILNS1_3genE5ELNS1_11target_archE942ELNS1_3gpuE9ELNS1_3repE0EEENS1_30default_config_static_selectorELNS0_4arch9wavefront6targetE1EEEvT1_ ; -- Begin function _ZN7rocprim17ROCPRIM_400000_NS6detail17trampoline_kernelINS0_14default_configENS1_25partition_config_selectorILNS1_17partition_subalgoE9EiibEEZZNS1_14partition_implILS5_9ELb0ES3_jPKiN6thrust23THRUST_200600_302600_NS17counting_iteratorIiNSB_11use_defaultESD_SD_EEPNS0_10empty_typeENS0_5tupleIJPiSF_EEENSH_IJSI_SG_EEENS0_18inequality_wrapperIN6hipcub16HIPCUB_304000_NS8EqualityEEEPlJSF_EEE10hipError_tPvRmT3_T4_T5_T6_T7_T9_mT8_P12ihipStream_tbDpT10_ENKUlT_T0_E_clISt17integral_constantIbLb0EES1A_EEDaS15_S16_EUlS15_E_NS1_11comp_targetILNS1_3genE5ELNS1_11target_archE942ELNS1_3gpuE9ELNS1_3repE0EEENS1_30default_config_static_selectorELNS0_4arch9wavefront6targetE1EEEvT1_
	.globl	_ZN7rocprim17ROCPRIM_400000_NS6detail17trampoline_kernelINS0_14default_configENS1_25partition_config_selectorILNS1_17partition_subalgoE9EiibEEZZNS1_14partition_implILS5_9ELb0ES3_jPKiN6thrust23THRUST_200600_302600_NS17counting_iteratorIiNSB_11use_defaultESD_SD_EEPNS0_10empty_typeENS0_5tupleIJPiSF_EEENSH_IJSI_SG_EEENS0_18inequality_wrapperIN6hipcub16HIPCUB_304000_NS8EqualityEEEPlJSF_EEE10hipError_tPvRmT3_T4_T5_T6_T7_T9_mT8_P12ihipStream_tbDpT10_ENKUlT_T0_E_clISt17integral_constantIbLb0EES1A_EEDaS15_S16_EUlS15_E_NS1_11comp_targetILNS1_3genE5ELNS1_11target_archE942ELNS1_3gpuE9ELNS1_3repE0EEENS1_30default_config_static_selectorELNS0_4arch9wavefront6targetE1EEEvT1_
	.p2align	8
	.type	_ZN7rocprim17ROCPRIM_400000_NS6detail17trampoline_kernelINS0_14default_configENS1_25partition_config_selectorILNS1_17partition_subalgoE9EiibEEZZNS1_14partition_implILS5_9ELb0ES3_jPKiN6thrust23THRUST_200600_302600_NS17counting_iteratorIiNSB_11use_defaultESD_SD_EEPNS0_10empty_typeENS0_5tupleIJPiSF_EEENSH_IJSI_SG_EEENS0_18inequality_wrapperIN6hipcub16HIPCUB_304000_NS8EqualityEEEPlJSF_EEE10hipError_tPvRmT3_T4_T5_T6_T7_T9_mT8_P12ihipStream_tbDpT10_ENKUlT_T0_E_clISt17integral_constantIbLb0EES1A_EEDaS15_S16_EUlS15_E_NS1_11comp_targetILNS1_3genE5ELNS1_11target_archE942ELNS1_3gpuE9ELNS1_3repE0EEENS1_30default_config_static_selectorELNS0_4arch9wavefront6targetE1EEEvT1_,@function
_ZN7rocprim17ROCPRIM_400000_NS6detail17trampoline_kernelINS0_14default_configENS1_25partition_config_selectorILNS1_17partition_subalgoE9EiibEEZZNS1_14partition_implILS5_9ELb0ES3_jPKiN6thrust23THRUST_200600_302600_NS17counting_iteratorIiNSB_11use_defaultESD_SD_EEPNS0_10empty_typeENS0_5tupleIJPiSF_EEENSH_IJSI_SG_EEENS0_18inequality_wrapperIN6hipcub16HIPCUB_304000_NS8EqualityEEEPlJSF_EEE10hipError_tPvRmT3_T4_T5_T6_T7_T9_mT8_P12ihipStream_tbDpT10_ENKUlT_T0_E_clISt17integral_constantIbLb0EES1A_EEDaS15_S16_EUlS15_E_NS1_11comp_targetILNS1_3genE5ELNS1_11target_archE942ELNS1_3gpuE9ELNS1_3repE0EEENS1_30default_config_static_selectorELNS0_4arch9wavefront6targetE1EEEvT1_: ; @_ZN7rocprim17ROCPRIM_400000_NS6detail17trampoline_kernelINS0_14default_configENS1_25partition_config_selectorILNS1_17partition_subalgoE9EiibEEZZNS1_14partition_implILS5_9ELb0ES3_jPKiN6thrust23THRUST_200600_302600_NS17counting_iteratorIiNSB_11use_defaultESD_SD_EEPNS0_10empty_typeENS0_5tupleIJPiSF_EEENSH_IJSI_SG_EEENS0_18inequality_wrapperIN6hipcub16HIPCUB_304000_NS8EqualityEEEPlJSF_EEE10hipError_tPvRmT3_T4_T5_T6_T7_T9_mT8_P12ihipStream_tbDpT10_ENKUlT_T0_E_clISt17integral_constantIbLb0EES1A_EEDaS15_S16_EUlS15_E_NS1_11comp_targetILNS1_3genE5ELNS1_11target_archE942ELNS1_3gpuE9ELNS1_3repE0EEENS1_30default_config_static_selectorELNS0_4arch9wavefront6targetE1EEEvT1_
; %bb.0:
	.section	.rodata,"a",@progbits
	.p2align	6, 0x0
	.amdhsa_kernel _ZN7rocprim17ROCPRIM_400000_NS6detail17trampoline_kernelINS0_14default_configENS1_25partition_config_selectorILNS1_17partition_subalgoE9EiibEEZZNS1_14partition_implILS5_9ELb0ES3_jPKiN6thrust23THRUST_200600_302600_NS17counting_iteratorIiNSB_11use_defaultESD_SD_EEPNS0_10empty_typeENS0_5tupleIJPiSF_EEENSH_IJSI_SG_EEENS0_18inequality_wrapperIN6hipcub16HIPCUB_304000_NS8EqualityEEEPlJSF_EEE10hipError_tPvRmT3_T4_T5_T6_T7_T9_mT8_P12ihipStream_tbDpT10_ENKUlT_T0_E_clISt17integral_constantIbLb0EES1A_EEDaS15_S16_EUlS15_E_NS1_11comp_targetILNS1_3genE5ELNS1_11target_archE942ELNS1_3gpuE9ELNS1_3repE0EEENS1_30default_config_static_selectorELNS0_4arch9wavefront6targetE1EEEvT1_
		.amdhsa_group_segment_fixed_size 0
		.amdhsa_private_segment_fixed_size 0
		.amdhsa_kernarg_size 112
		.amdhsa_user_sgpr_count 6
		.amdhsa_user_sgpr_private_segment_buffer 1
		.amdhsa_user_sgpr_dispatch_ptr 0
		.amdhsa_user_sgpr_queue_ptr 0
		.amdhsa_user_sgpr_kernarg_segment_ptr 1
		.amdhsa_user_sgpr_dispatch_id 0
		.amdhsa_user_sgpr_flat_scratch_init 0
		.amdhsa_user_sgpr_kernarg_preload_length 0
		.amdhsa_user_sgpr_kernarg_preload_offset 0
		.amdhsa_user_sgpr_private_segment_size 0
		.amdhsa_uses_dynamic_stack 0
		.amdhsa_system_sgpr_private_segment_wavefront_offset 0
		.amdhsa_system_sgpr_workgroup_id_x 1
		.amdhsa_system_sgpr_workgroup_id_y 0
		.amdhsa_system_sgpr_workgroup_id_z 0
		.amdhsa_system_sgpr_workgroup_info 0
		.amdhsa_system_vgpr_workitem_id 0
		.amdhsa_next_free_vgpr 1
		.amdhsa_next_free_sgpr 0
		.amdhsa_accum_offset 4
		.amdhsa_reserve_vcc 0
		.amdhsa_reserve_flat_scratch 0
		.amdhsa_float_round_mode_32 0
		.amdhsa_float_round_mode_16_64 0
		.amdhsa_float_denorm_mode_32 3
		.amdhsa_float_denorm_mode_16_64 3
		.amdhsa_dx10_clamp 1
		.amdhsa_ieee_mode 1
		.amdhsa_fp16_overflow 0
		.amdhsa_tg_split 0
		.amdhsa_exception_fp_ieee_invalid_op 0
		.amdhsa_exception_fp_denorm_src 0
		.amdhsa_exception_fp_ieee_div_zero 0
		.amdhsa_exception_fp_ieee_overflow 0
		.amdhsa_exception_fp_ieee_underflow 0
		.amdhsa_exception_fp_ieee_inexact 0
		.amdhsa_exception_int_div_zero 0
	.end_amdhsa_kernel
	.section	.text._ZN7rocprim17ROCPRIM_400000_NS6detail17trampoline_kernelINS0_14default_configENS1_25partition_config_selectorILNS1_17partition_subalgoE9EiibEEZZNS1_14partition_implILS5_9ELb0ES3_jPKiN6thrust23THRUST_200600_302600_NS17counting_iteratorIiNSB_11use_defaultESD_SD_EEPNS0_10empty_typeENS0_5tupleIJPiSF_EEENSH_IJSI_SG_EEENS0_18inequality_wrapperIN6hipcub16HIPCUB_304000_NS8EqualityEEEPlJSF_EEE10hipError_tPvRmT3_T4_T5_T6_T7_T9_mT8_P12ihipStream_tbDpT10_ENKUlT_T0_E_clISt17integral_constantIbLb0EES1A_EEDaS15_S16_EUlS15_E_NS1_11comp_targetILNS1_3genE5ELNS1_11target_archE942ELNS1_3gpuE9ELNS1_3repE0EEENS1_30default_config_static_selectorELNS0_4arch9wavefront6targetE1EEEvT1_,"axG",@progbits,_ZN7rocprim17ROCPRIM_400000_NS6detail17trampoline_kernelINS0_14default_configENS1_25partition_config_selectorILNS1_17partition_subalgoE9EiibEEZZNS1_14partition_implILS5_9ELb0ES3_jPKiN6thrust23THRUST_200600_302600_NS17counting_iteratorIiNSB_11use_defaultESD_SD_EEPNS0_10empty_typeENS0_5tupleIJPiSF_EEENSH_IJSI_SG_EEENS0_18inequality_wrapperIN6hipcub16HIPCUB_304000_NS8EqualityEEEPlJSF_EEE10hipError_tPvRmT3_T4_T5_T6_T7_T9_mT8_P12ihipStream_tbDpT10_ENKUlT_T0_E_clISt17integral_constantIbLb0EES1A_EEDaS15_S16_EUlS15_E_NS1_11comp_targetILNS1_3genE5ELNS1_11target_archE942ELNS1_3gpuE9ELNS1_3repE0EEENS1_30default_config_static_selectorELNS0_4arch9wavefront6targetE1EEEvT1_,comdat
.Lfunc_end2:
	.size	_ZN7rocprim17ROCPRIM_400000_NS6detail17trampoline_kernelINS0_14default_configENS1_25partition_config_selectorILNS1_17partition_subalgoE9EiibEEZZNS1_14partition_implILS5_9ELb0ES3_jPKiN6thrust23THRUST_200600_302600_NS17counting_iteratorIiNSB_11use_defaultESD_SD_EEPNS0_10empty_typeENS0_5tupleIJPiSF_EEENSH_IJSI_SG_EEENS0_18inequality_wrapperIN6hipcub16HIPCUB_304000_NS8EqualityEEEPlJSF_EEE10hipError_tPvRmT3_T4_T5_T6_T7_T9_mT8_P12ihipStream_tbDpT10_ENKUlT_T0_E_clISt17integral_constantIbLb0EES1A_EEDaS15_S16_EUlS15_E_NS1_11comp_targetILNS1_3genE5ELNS1_11target_archE942ELNS1_3gpuE9ELNS1_3repE0EEENS1_30default_config_static_selectorELNS0_4arch9wavefront6targetE1EEEvT1_, .Lfunc_end2-_ZN7rocprim17ROCPRIM_400000_NS6detail17trampoline_kernelINS0_14default_configENS1_25partition_config_selectorILNS1_17partition_subalgoE9EiibEEZZNS1_14partition_implILS5_9ELb0ES3_jPKiN6thrust23THRUST_200600_302600_NS17counting_iteratorIiNSB_11use_defaultESD_SD_EEPNS0_10empty_typeENS0_5tupleIJPiSF_EEENSH_IJSI_SG_EEENS0_18inequality_wrapperIN6hipcub16HIPCUB_304000_NS8EqualityEEEPlJSF_EEE10hipError_tPvRmT3_T4_T5_T6_T7_T9_mT8_P12ihipStream_tbDpT10_ENKUlT_T0_E_clISt17integral_constantIbLb0EES1A_EEDaS15_S16_EUlS15_E_NS1_11comp_targetILNS1_3genE5ELNS1_11target_archE942ELNS1_3gpuE9ELNS1_3repE0EEENS1_30default_config_static_selectorELNS0_4arch9wavefront6targetE1EEEvT1_
                                        ; -- End function
	.section	.AMDGPU.csdata,"",@progbits
; Kernel info:
; codeLenInByte = 0
; NumSgprs: 4
; NumVgprs: 0
; NumAgprs: 0
; TotalNumVgprs: 0
; ScratchSize: 0
; MemoryBound: 0
; FloatMode: 240
; IeeeMode: 1
; LDSByteSize: 0 bytes/workgroup (compile time only)
; SGPRBlocks: 0
; VGPRBlocks: 0
; NumSGPRsForWavesPerEU: 4
; NumVGPRsForWavesPerEU: 1
; AccumOffset: 4
; Occupancy: 8
; WaveLimiterHint : 0
; COMPUTE_PGM_RSRC2:SCRATCH_EN: 0
; COMPUTE_PGM_RSRC2:USER_SGPR: 6
; COMPUTE_PGM_RSRC2:TRAP_HANDLER: 0
; COMPUTE_PGM_RSRC2:TGID_X_EN: 1
; COMPUTE_PGM_RSRC2:TGID_Y_EN: 0
; COMPUTE_PGM_RSRC2:TGID_Z_EN: 0
; COMPUTE_PGM_RSRC2:TIDIG_COMP_CNT: 0
; COMPUTE_PGM_RSRC3_GFX90A:ACCUM_OFFSET: 0
; COMPUTE_PGM_RSRC3_GFX90A:TG_SPLIT: 0
	.section	.text._ZN7rocprim17ROCPRIM_400000_NS6detail17trampoline_kernelINS0_14default_configENS1_25partition_config_selectorILNS1_17partition_subalgoE9EiibEEZZNS1_14partition_implILS5_9ELb0ES3_jPKiN6thrust23THRUST_200600_302600_NS17counting_iteratorIiNSB_11use_defaultESD_SD_EEPNS0_10empty_typeENS0_5tupleIJPiSF_EEENSH_IJSI_SG_EEENS0_18inequality_wrapperIN6hipcub16HIPCUB_304000_NS8EqualityEEEPlJSF_EEE10hipError_tPvRmT3_T4_T5_T6_T7_T9_mT8_P12ihipStream_tbDpT10_ENKUlT_T0_E_clISt17integral_constantIbLb0EES1A_EEDaS15_S16_EUlS15_E_NS1_11comp_targetILNS1_3genE4ELNS1_11target_archE910ELNS1_3gpuE8ELNS1_3repE0EEENS1_30default_config_static_selectorELNS0_4arch9wavefront6targetE1EEEvT1_,"axG",@progbits,_ZN7rocprim17ROCPRIM_400000_NS6detail17trampoline_kernelINS0_14default_configENS1_25partition_config_selectorILNS1_17partition_subalgoE9EiibEEZZNS1_14partition_implILS5_9ELb0ES3_jPKiN6thrust23THRUST_200600_302600_NS17counting_iteratorIiNSB_11use_defaultESD_SD_EEPNS0_10empty_typeENS0_5tupleIJPiSF_EEENSH_IJSI_SG_EEENS0_18inequality_wrapperIN6hipcub16HIPCUB_304000_NS8EqualityEEEPlJSF_EEE10hipError_tPvRmT3_T4_T5_T6_T7_T9_mT8_P12ihipStream_tbDpT10_ENKUlT_T0_E_clISt17integral_constantIbLb0EES1A_EEDaS15_S16_EUlS15_E_NS1_11comp_targetILNS1_3genE4ELNS1_11target_archE910ELNS1_3gpuE8ELNS1_3repE0EEENS1_30default_config_static_selectorELNS0_4arch9wavefront6targetE1EEEvT1_,comdat
	.protected	_ZN7rocprim17ROCPRIM_400000_NS6detail17trampoline_kernelINS0_14default_configENS1_25partition_config_selectorILNS1_17partition_subalgoE9EiibEEZZNS1_14partition_implILS5_9ELb0ES3_jPKiN6thrust23THRUST_200600_302600_NS17counting_iteratorIiNSB_11use_defaultESD_SD_EEPNS0_10empty_typeENS0_5tupleIJPiSF_EEENSH_IJSI_SG_EEENS0_18inequality_wrapperIN6hipcub16HIPCUB_304000_NS8EqualityEEEPlJSF_EEE10hipError_tPvRmT3_T4_T5_T6_T7_T9_mT8_P12ihipStream_tbDpT10_ENKUlT_T0_E_clISt17integral_constantIbLb0EES1A_EEDaS15_S16_EUlS15_E_NS1_11comp_targetILNS1_3genE4ELNS1_11target_archE910ELNS1_3gpuE8ELNS1_3repE0EEENS1_30default_config_static_selectorELNS0_4arch9wavefront6targetE1EEEvT1_ ; -- Begin function _ZN7rocprim17ROCPRIM_400000_NS6detail17trampoline_kernelINS0_14default_configENS1_25partition_config_selectorILNS1_17partition_subalgoE9EiibEEZZNS1_14partition_implILS5_9ELb0ES3_jPKiN6thrust23THRUST_200600_302600_NS17counting_iteratorIiNSB_11use_defaultESD_SD_EEPNS0_10empty_typeENS0_5tupleIJPiSF_EEENSH_IJSI_SG_EEENS0_18inequality_wrapperIN6hipcub16HIPCUB_304000_NS8EqualityEEEPlJSF_EEE10hipError_tPvRmT3_T4_T5_T6_T7_T9_mT8_P12ihipStream_tbDpT10_ENKUlT_T0_E_clISt17integral_constantIbLb0EES1A_EEDaS15_S16_EUlS15_E_NS1_11comp_targetILNS1_3genE4ELNS1_11target_archE910ELNS1_3gpuE8ELNS1_3repE0EEENS1_30default_config_static_selectorELNS0_4arch9wavefront6targetE1EEEvT1_
	.globl	_ZN7rocprim17ROCPRIM_400000_NS6detail17trampoline_kernelINS0_14default_configENS1_25partition_config_selectorILNS1_17partition_subalgoE9EiibEEZZNS1_14partition_implILS5_9ELb0ES3_jPKiN6thrust23THRUST_200600_302600_NS17counting_iteratorIiNSB_11use_defaultESD_SD_EEPNS0_10empty_typeENS0_5tupleIJPiSF_EEENSH_IJSI_SG_EEENS0_18inequality_wrapperIN6hipcub16HIPCUB_304000_NS8EqualityEEEPlJSF_EEE10hipError_tPvRmT3_T4_T5_T6_T7_T9_mT8_P12ihipStream_tbDpT10_ENKUlT_T0_E_clISt17integral_constantIbLb0EES1A_EEDaS15_S16_EUlS15_E_NS1_11comp_targetILNS1_3genE4ELNS1_11target_archE910ELNS1_3gpuE8ELNS1_3repE0EEENS1_30default_config_static_selectorELNS0_4arch9wavefront6targetE1EEEvT1_
	.p2align	8
	.type	_ZN7rocprim17ROCPRIM_400000_NS6detail17trampoline_kernelINS0_14default_configENS1_25partition_config_selectorILNS1_17partition_subalgoE9EiibEEZZNS1_14partition_implILS5_9ELb0ES3_jPKiN6thrust23THRUST_200600_302600_NS17counting_iteratorIiNSB_11use_defaultESD_SD_EEPNS0_10empty_typeENS0_5tupleIJPiSF_EEENSH_IJSI_SG_EEENS0_18inequality_wrapperIN6hipcub16HIPCUB_304000_NS8EqualityEEEPlJSF_EEE10hipError_tPvRmT3_T4_T5_T6_T7_T9_mT8_P12ihipStream_tbDpT10_ENKUlT_T0_E_clISt17integral_constantIbLb0EES1A_EEDaS15_S16_EUlS15_E_NS1_11comp_targetILNS1_3genE4ELNS1_11target_archE910ELNS1_3gpuE8ELNS1_3repE0EEENS1_30default_config_static_selectorELNS0_4arch9wavefront6targetE1EEEvT1_,@function
_ZN7rocprim17ROCPRIM_400000_NS6detail17trampoline_kernelINS0_14default_configENS1_25partition_config_selectorILNS1_17partition_subalgoE9EiibEEZZNS1_14partition_implILS5_9ELb0ES3_jPKiN6thrust23THRUST_200600_302600_NS17counting_iteratorIiNSB_11use_defaultESD_SD_EEPNS0_10empty_typeENS0_5tupleIJPiSF_EEENSH_IJSI_SG_EEENS0_18inequality_wrapperIN6hipcub16HIPCUB_304000_NS8EqualityEEEPlJSF_EEE10hipError_tPvRmT3_T4_T5_T6_T7_T9_mT8_P12ihipStream_tbDpT10_ENKUlT_T0_E_clISt17integral_constantIbLb0EES1A_EEDaS15_S16_EUlS15_E_NS1_11comp_targetILNS1_3genE4ELNS1_11target_archE910ELNS1_3gpuE8ELNS1_3repE0EEENS1_30default_config_static_selectorELNS0_4arch9wavefront6targetE1EEEvT1_: ; @_ZN7rocprim17ROCPRIM_400000_NS6detail17trampoline_kernelINS0_14default_configENS1_25partition_config_selectorILNS1_17partition_subalgoE9EiibEEZZNS1_14partition_implILS5_9ELb0ES3_jPKiN6thrust23THRUST_200600_302600_NS17counting_iteratorIiNSB_11use_defaultESD_SD_EEPNS0_10empty_typeENS0_5tupleIJPiSF_EEENSH_IJSI_SG_EEENS0_18inequality_wrapperIN6hipcub16HIPCUB_304000_NS8EqualityEEEPlJSF_EEE10hipError_tPvRmT3_T4_T5_T6_T7_T9_mT8_P12ihipStream_tbDpT10_ENKUlT_T0_E_clISt17integral_constantIbLb0EES1A_EEDaS15_S16_EUlS15_E_NS1_11comp_targetILNS1_3genE4ELNS1_11target_archE910ELNS1_3gpuE8ELNS1_3repE0EEENS1_30default_config_static_selectorELNS0_4arch9wavefront6targetE1EEEvT1_
; %bb.0:
	s_load_dwordx2 s[10:11], s[4:5], 0x50
	s_load_dwordx4 s[0:3], s[4:5], 0x8
	s_load_dwordx4 s[20:23], s[4:5], 0x40
	s_load_dword s7, s[4:5], 0x68
	s_waitcnt lgkmcnt(0)
	v_mov_b32_e32 v3, s11
	s_lshl_b64 s[8:9], s[2:3], 2
	s_add_u32 s12, s0, s8
	s_mul_i32 s0, s7, 0x540
	s_addc_u32 s13, s1, s9
	s_add_i32 s1, s0, s2
	s_add_i32 s11, s7, -1
	s_sub_i32 s7, s10, s1
	s_add_u32 s0, s2, s0
	s_addc_u32 s1, s3, 0
	v_mov_b32_e32 v2, s10
	s_cmp_eq_u32 s6, s11
	s_load_dwordx2 s[22:23], s[22:23], 0x0
	v_cmp_ge_u64_e32 vcc, s[0:1], v[2:3]
	s_cselect_b64 s[24:25], -1, 0
	s_mul_i32 s8, s6, 0x540
	s_mov_b32 s9, 0
	s_and_b64 s[16:17], s[24:25], vcc
	s_xor_b64 s[26:27], s[16:17], -1
	s_lshl_b64 s[0:1], s[8:9], 2
	s_add_u32 s0, s12, s0
	s_mov_b64 s[10:11], -1
	s_addc_u32 s1, s13, s1
	s_and_b64 vcc, exec, s[26:27]
	s_cbranch_vccz .LBB3_2
; %bb.1:
	v_lshlrev_b32_e32 v1, 2, v0
	v_mov_b32_e32 v2, s1
	v_add_co_u32_e32 v3, vcc, s0, v1
	v_addc_co_u32_e32 v4, vcc, 0, v2, vcc
	v_add_co_u32_e32 v2, vcc, 0x1000, v3
	v_addc_co_u32_e32 v3, vcc, 0, v4, vcc
	global_load_dword v4, v1, s[0:1]
	global_load_dword v5, v1, s[0:1] offset:768
	global_load_dword v6, v1, s[0:1] offset:1536
	;; [unrolled: 1-line block ×5, first 2 shown]
	global_load_dword v10, v[2:3], off offset:512
	s_mov_b64 s[10:11], 0
	s_waitcnt vmcnt(5)
	ds_write2st64_b32 v1, v4, v5 offset1:3
	s_waitcnt vmcnt(3)
	ds_write2st64_b32 v1, v6, v7 offset0:6 offset1:9
	s_waitcnt vmcnt(1)
	ds_write2st64_b32 v1, v8, v9 offset0:12 offset1:15
	s_waitcnt vmcnt(0)
	ds_write_b32 v1, v10 offset:4608
	s_waitcnt lgkmcnt(0)
	s_barrier
.LBB3_2:
	s_load_dword s9, s[4:5], 0x18
	s_andn2_b64 vcc, exec, s[10:11]
	s_addk_i32 s7, 0x540
	s_cbranch_vccnz .LBB3_18
; %bb.3:
	v_cmp_gt_u32_e32 vcc, s7, v0
                                        ; implicit-def: $vgpr2_vgpr3_vgpr4_vgpr5_vgpr6_vgpr7_vgpr8
	s_and_saveexec_b64 s[10:11], vcc
	s_cbranch_execz .LBB3_5
; %bb.4:
	v_lshlrev_b32_e32 v1, 2, v0
	global_load_dword v2, v1, s[0:1]
.LBB3_5:
	s_or_b64 exec, exec, s[10:11]
	v_add_u32_e32 v1, 0xc0, v0
	v_cmp_gt_u32_e32 vcc, s7, v1
	s_and_saveexec_b64 s[10:11], vcc
	s_cbranch_execz .LBB3_7
; %bb.6:
	v_lshlrev_b32_e32 v1, 2, v0
	global_load_dword v3, v1, s[0:1] offset:768
.LBB3_7:
	s_or_b64 exec, exec, s[10:11]
	v_add_u32_e32 v1, 0x180, v0
	v_cmp_gt_u32_e32 vcc, s7, v1
	s_and_saveexec_b64 s[10:11], vcc
	s_cbranch_execz .LBB3_9
; %bb.8:
	v_lshlrev_b32_e32 v1, 2, v0
	global_load_dword v4, v1, s[0:1] offset:1536
.LBB3_9:
	;; [unrolled: 9-line block ×3, first 2 shown]
	s_or_b64 exec, exec, s[10:11]
	v_or_b32_e32 v1, 0x300, v0
	v_cmp_gt_u32_e32 vcc, s7, v1
	s_and_saveexec_b64 s[10:11], vcc
	s_cbranch_execz .LBB3_13
; %bb.12:
	v_lshlrev_b32_e32 v1, 2, v0
	global_load_dword v6, v1, s[0:1] offset:3072
.LBB3_13:
	s_or_b64 exec, exec, s[10:11]
	v_add_u32_e32 v1, 0x3c0, v0
	v_cmp_gt_u32_e32 vcc, s7, v1
	s_and_saveexec_b64 s[10:11], vcc
	s_cbranch_execz .LBB3_15
; %bb.14:
	v_lshlrev_b32_e32 v1, 2, v0
	global_load_dword v7, v1, s[0:1] offset:3840
.LBB3_15:
	s_or_b64 exec, exec, s[10:11]
	v_add_u32_e32 v1, 0x480, v0
	v_cmp_gt_u32_e32 vcc, s7, v1
	s_and_saveexec_b64 s[10:11], vcc
	s_cbranch_execz .LBB3_17
; %bb.16:
	v_lshlrev_b32_e32 v1, 2, v1
	global_load_dword v8, v1, s[0:1]
.LBB3_17:
	s_or_b64 exec, exec, s[10:11]
	v_lshlrev_b32_e32 v1, 2, v0
	s_waitcnt vmcnt(0)
	ds_write2st64_b32 v1, v2, v3 offset1:3
	ds_write2st64_b32 v1, v4, v5 offset0:6 offset1:9
	ds_write2st64_b32 v1, v6, v7 offset0:12 offset1:15
	ds_write_b32 v1, v8 offset:4608
	s_waitcnt lgkmcnt(0)
	s_barrier
.LBB3_18:
	v_mul_u32_u24_e32 v16, 7, v0
	v_lshlrev_b32_e32 v8, 2, v16
	s_waitcnt lgkmcnt(0)
	ds_read2_b32 v[14:15], v8 offset1:1
	ds_read2_b32 v[12:13], v8 offset0:2 offset1:3
	ds_read2_b32 v[10:11], v8 offset0:4 offset1:5
	ds_read_b32 v32, v8 offset:24
	s_add_i32 s8, s8, s2
	s_add_i32 s8, s8, s9
	v_add_u32_e32 v1, s8, v0
	s_mov_b64 s[8:9], -1
	s_and_b64 vcc, exec, s[26:27]
	s_waitcnt lgkmcnt(0)
	s_barrier
	s_cbranch_vccz .LBB3_20
; %bb.19:
	v_add_u32_e32 v2, 0xc0, v1
	v_lshlrev_b32_e32 v9, 2, v0
	v_add_u32_e32 v3, 0x180, v1
	v_add_u32_e32 v4, 0x240, v1
	;; [unrolled: 1-line block ×5, first 2 shown]
	ds_write2st64_b32 v9, v1, v2 offset1:3
	ds_write2st64_b32 v9, v3, v4 offset0:6 offset1:9
	ds_write2st64_b32 v9, v5, v6 offset0:12 offset1:15
	ds_write_b32 v9, v7 offset:4608
	s_waitcnt lgkmcnt(0)
	s_barrier
	s_mov_b64 s[8:9], 0
.LBB3_20:
	s_andn2_b64 vcc, exec, s[8:9]
	s_cbranch_vccnz .LBB3_22
; %bb.21:
	s_movk_i32 s8, 0xffe8
	v_add_u32_e32 v2, 0xc0, v1
	v_mad_i32_i24 v9, v0, s8, v8
	v_add_u32_e32 v3, 0x180, v1
	v_add_u32_e32 v4, 0x240, v1
	;; [unrolled: 1-line block ×5, first 2 shown]
	ds_write2st64_b32 v9, v1, v2 offset1:3
	ds_write2st64_b32 v9, v3, v4 offset0:6 offset1:9
	ds_write2st64_b32 v9, v5, v6 offset0:12 offset1:15
	ds_write_b32 v9, v7 offset:4608
	s_waitcnt lgkmcnt(0)
	s_barrier
.LBB3_22:
	ds_read2_b32 v[6:7], v8 offset1:1
	ds_read2_b32 v[4:5], v8 offset0:2 offset1:3
	ds_read2_b32 v[2:3], v8 offset0:4 offset1:5
	ds_read_b32 v1, v8 offset:24
	s_cmp_lg_u32 s6, 0
	s_cselect_b64 s[30:31], -1, 0
	s_cmp_lg_u64 s[2:3], 0
	s_cselect_b64 s[2:3], -1, 0
	s_or_b64 s[2:3], s[30:31], s[2:3]
	v_add_u32_e32 v22, 1, v16
	v_add_u32_e32 v21, 2, v16
	;; [unrolled: 1-line block ×6, first 2 shown]
	s_mov_b64 s[18:19], 0
	s_and_b64 vcc, exec, s[2:3]
	s_waitcnt lgkmcnt(0)
	s_barrier
	s_cbranch_vccz .LBB3_27
; %bb.23:
	s_add_u32 s0, s0, -4
	s_addc_u32 s1, s1, -1
	s_load_dword s8, s[0:1], 0x0
	v_lshlrev_b32_e32 v9, 2, v0
	s_and_b64 vcc, exec, s[26:27]
	ds_write_b32 v9, v32
	s_cbranch_vccz .LBB3_29
; %bb.24:
	v_cmp_ne_u32_e32 vcc, 0, v0
	s_waitcnt lgkmcnt(0)
	v_mov_b32_e32 v26, s8
	s_barrier
	s_and_saveexec_b64 s[0:1], vcc
	s_cbranch_execz .LBB3_26
; %bb.25:
	v_add_u32_e32 v23, -4, v9
	ds_read_b32 v26, v23
.LBB3_26:
	s_or_b64 exec, exec, s[0:1]
	v_cmp_ne_u32_e32 vcc, v11, v32
	v_cndmask_b32_e64 v25, 0, 1, vcc
	v_cmp_ne_u32_e32 vcc, v10, v11
	v_cndmask_b32_e64 v23, 0, 1, vcc
	;; [unrolled: 2-line block ×6, first 2 shown]
	s_waitcnt lgkmcnt(0)
	v_cmp_ne_u32_e64 s[0:1], v26, v14
	v_lshlrev_b16_e32 v26, 8, v27
	v_or_b32_sdwa v26, v28, v26 dst_sel:WORD_1 dst_unused:UNUSED_PAD src0_sel:DWORD src1_sel:DWORD
	v_lshlrev_b16_e32 v27, 8, v29
	v_or_b32_e32 v26, v27, v26
	s_branch .LBB3_33
.LBB3_27:
                                        ; implicit-def: $sgpr0_sgpr1
                                        ; implicit-def: $vgpr25
                                        ; implicit-def: $vgpr23
                                        ; implicit-def: $vgpr24
                                        ; implicit-def: $vgpr26
	s_branch .LBB3_34
.LBB3_28:
                                        ; implicit-def: $vgpr8_vgpr9
	s_and_saveexec_b64 s[2:3], s[18:19]
	s_cbranch_execnz .LBB3_42
	s_branch .LBB3_43
.LBB3_29:
                                        ; implicit-def: $sgpr0_sgpr1
                                        ; implicit-def: $vgpr25
                                        ; implicit-def: $vgpr23
                                        ; implicit-def: $vgpr24
                                        ; implicit-def: $vgpr26
	s_cbranch_execz .LBB3_33
; %bb.30:
	v_cmp_ne_u32_e32 vcc, 0, v0
	s_waitcnt lgkmcnt(0)
	v_mov_b32_e32 v26, s8
	s_barrier
	s_and_saveexec_b64 s[0:1], vcc
	s_cbranch_execz .LBB3_32
; %bb.31:
	v_add_u32_e32 v9, -4, v9
	ds_read_b32 v26, v9
.LBB3_32:
	s_or_b64 exec, exec, s[0:1]
	v_cmp_gt_u32_e32 vcc, s7, v17
	v_cmp_ne_u32_e64 s[0:1], v11, v32
	s_and_b64 s[0:1], vcc, s[0:1]
	v_cndmask_b32_e64 v25, 0, 1, s[0:1]
	v_cmp_gt_u32_e32 vcc, s7, v18
	v_cmp_ne_u32_e64 s[0:1], v10, v11
	s_and_b64 s[0:1], vcc, s[0:1]
	v_cndmask_b32_e64 v23, 0, 1, s[0:1]
	;; [unrolled: 4-line block ×6, first 2 shown]
	v_lshlrev_b16_e32 v9, 8, v9
	v_cmp_gt_u32_e32 vcc, s7, v16
	s_waitcnt lgkmcnt(0)
	v_cmp_ne_u32_e64 s[0:1], v26, v14
	v_or_b32_sdwa v9, v27, v9 dst_sel:WORD_1 dst_unused:UNUSED_PAD src0_sel:DWORD src1_sel:DWORD
	v_lshlrev_b16_e32 v26, 8, v28
	s_and_b64 s[0:1], vcc, s[0:1]
	v_or_b32_e32 v26, v26, v9
.LBB3_33:
	s_mov_b64 s[18:19], -1
	s_cbranch_execnz .LBB3_28
.LBB3_34:
	s_movk_i32 s0, 0xffe8
	v_mad_i32_i24 v27, v0, s0, v8
	s_and_b64 vcc, exec, s[26:27]
	v_cmp_ne_u32_e64 s[0:1], v11, v32
	v_cmp_ne_u32_e64 s[2:3], v10, v11
	v_cmp_ne_u32_e64 s[14:15], v13, v10
	s_waitcnt lgkmcnt(0)
	v_cmp_ne_u32_e64 s[8:9], v12, v13
	v_cmp_ne_u32_e64 s[10:11], v15, v12
	;; [unrolled: 1-line block ×3, first 2 shown]
	ds_write_b32 v27, v32
	s_cbranch_vccz .LBB3_38
; %bb.35:
	v_cndmask_b32_e64 v23, 0, 1, s[2:3]
	v_cndmask_b32_e64 v8, 0, 1, s[8:9]
	;; [unrolled: 1-line block ×5, first 2 shown]
	v_lshlrev_b16_e32 v9, 8, v23
	v_lshlrev_b16_e32 v8, 8, v8
	v_or_b32_e32 v9, v24, v9
	v_or_b32_sdwa v8, v26, v8 dst_sel:WORD_1 dst_unused:UNUSED_PAD src0_sel:DWORD src1_sel:DWORD
	v_lshlrev_b16_e32 v26, 8, v28
	v_and_b32_e32 v9, 0xffff, v9
	v_cndmask_b32_e64 v25, 0, 1, s[0:1]
	v_or_b32_e32 v26, 1, v26
	v_lshl_or_b32 v9, v25, 16, v9
	v_or_b32_sdwa v8, v26, v8 dst_sel:DWORD dst_unused:UNUSED_PAD src0_sel:WORD_0 src1_sel:DWORD
	v_cmp_ne_u32_e32 vcc, 0, v0
	s_waitcnt lgkmcnt(0)
	s_barrier
	s_waitcnt lgkmcnt(0)
                                        ; implicit-def: $sgpr0_sgpr1
                                        ; implicit-def: $vgpr26
	s_and_saveexec_b64 s[2:3], vcc
	s_xor_b64 s[2:3], exec, s[2:3]
	s_cbranch_execz .LBB3_37
; %bb.36:
	v_add_u32_e32 v9, -4, v27
	ds_read_b32 v9, v9
	s_mov_b32 s0, 0x3020104
	v_perm_b32 v26, v8, v8, s0
	s_or_b64 s[18:19], s[18:19], exec
	s_waitcnt lgkmcnt(0)
	v_cmp_ne_u32_e32 vcc, v9, v14
	s_and_b64 s[0:1], vcc, exec
                                        ; implicit-def: $vgpr8_vgpr9
.LBB3_37:
	s_or_b64 exec, exec, s[2:3]
	s_branch .LBB3_41
.LBB3_38:
                                        ; implicit-def: $sgpr0_sgpr1
                                        ; implicit-def: $vgpr25
                                        ; implicit-def: $vgpr23
                                        ; implicit-def: $vgpr24
                                        ; implicit-def: $vgpr26
                                        ; implicit-def: $vgpr8_vgpr9
	s_cbranch_execz .LBB3_41
; %bb.39:
	v_cmp_gt_u32_e64 s[2:3], s7, v18
	v_cmp_ne_u32_e64 s[8:9], v10, v11
	s_and_b64 s[2:3], s[2:3], s[8:9]
	v_cndmask_b32_e64 v23, 0, 1, s[2:3]
	v_cmp_gt_u32_e64 s[2:3], s7, v19
	v_cmp_ne_u32_e64 s[8:9], v13, v10
	s_and_b64 s[2:3], s[2:3], s[8:9]
	v_cndmask_b32_e64 v24, 0, 1, s[2:3]
	;; [unrolled: 4-line block ×4, first 2 shown]
	v_cmp_gt_u32_e64 s[2:3], s7, v22
	v_cmp_ne_u32_e64 s[8:9], v14, v15
	s_and_b64 s[2:3], s[2:3], s[8:9]
	v_cmp_gt_u32_e32 vcc, s7, v17
	v_cmp_ne_u32_e64 s[0:1], v11, v32
	v_cndmask_b32_e64 v28, 0, 1, s[2:3]
	v_lshlrev_b16_e32 v9, 8, v23
	v_lshlrev_b16_e32 v8, 8, v8
	v_or_b32_e32 v9, v24, v9
	s_and_b64 s[0:1], vcc, s[0:1]
	v_or_b32_sdwa v8, v26, v8 dst_sel:WORD_1 dst_unused:UNUSED_PAD src0_sel:DWORD src1_sel:DWORD
	v_lshlrev_b16_e32 v26, 8, v28
	v_and_b32_e32 v9, 0xffff, v9
	v_cndmask_b32_e64 v25, 0, 1, s[0:1]
	v_or_b32_e32 v26, 1, v26
	v_lshl_or_b32 v9, v25, 16, v9
	v_or_b32_sdwa v8, v26, v8 dst_sel:DWORD dst_unused:UNUSED_PAD src0_sel:WORD_0 src1_sel:DWORD
	v_cmp_ne_u32_e32 vcc, 0, v0
	s_waitcnt lgkmcnt(0)
	s_barrier
	s_waitcnt lgkmcnt(0)
                                        ; implicit-def: $sgpr0_sgpr1
                                        ; implicit-def: $vgpr26
	s_and_saveexec_b64 s[2:3], vcc
	s_cbranch_execz .LBB3_169
; %bb.40:
	v_add_u32_e32 v9, -4, v27
	ds_read_b32 v9, v9
	s_mov_b32 s0, 0x3020104
	v_cmp_gt_u32_e32 vcc, s7, v16
	v_perm_b32 v26, v8, v8, s0
	s_or_b64 s[18:19], s[18:19], exec
	s_waitcnt lgkmcnt(0)
	v_cmp_ne_u32_e64 s[0:1], v9, v14
	s_and_b64 s[0:1], vcc, s[0:1]
	s_and_b64 s[0:1], s[0:1], exec
                                        ; implicit-def: $vgpr8_vgpr9
	s_or_b64 exec, exec, s[2:3]
.LBB3_41:
	s_and_saveexec_b64 s[2:3], s[18:19]
	s_cbranch_execz .LBB3_43
.LBB3_42:
	v_lshlrev_b16_e32 v9, 8, v23
	v_and_b32_e32 v23, 0xff, v25
	v_or_b32_sdwa v9, v24, v9 dst_sel:DWORD dst_unused:UNUSED_PAD src0_sel:BYTE_0 src1_sel:DWORD
	v_lshlrev_b32_e32 v23, 16, v23
	v_cndmask_b32_e64 v8, 0, 1, s[0:1]
	s_movk_i32 s0, 0xff
	v_or_b32_sdwa v9, v9, v23 dst_sel:DWORD dst_unused:UNUSED_PAD src0_sel:WORD_0 src1_sel:DWORD
	v_lshrrev_b32_e32 v23, 24, v26
	v_lshlrev_b16_e32 v23, 8, v23
	v_and_b32_sdwa v24, v26, s0 dst_sel:DWORD dst_unused:UNUSED_PAD src0_sel:WORD_1 src1_sel:DWORD
	v_or_b32_sdwa v23, v24, v23 dst_sel:WORD_1 dst_unused:UNUSED_PAD src0_sel:DWORD src1_sel:DWORD
	v_mov_b32_e32 v24, 8
	v_lshrrev_b32_sdwa v24, v24, v26 dst_sel:BYTE_1 dst_unused:UNUSED_PAD src0_sel:DWORD src1_sel:DWORD
	v_or_b32_e32 v8, v8, v24
	v_or_b32_sdwa v8, v8, v23 dst_sel:DWORD dst_unused:UNUSED_PAD src0_sel:WORD_0 src1_sel:DWORD
.LBB3_43:
	s_or_b64 exec, exec, s[2:3]
	s_load_dwordx2 s[28:29], s[4:5], 0x60
	s_andn2_b64 vcc, exec, s[16:17]
	s_cbranch_vccnz .LBB3_45
; %bb.44:
	v_and_b32_e32 v23, 0xffff0000, v8
	v_cmp_gt_u32_e32 vcc, s7, v16
	v_cndmask_b32_e32 v16, v23, v8, vcc
	v_and_b32_e32 v16, 0xffff00ff, v16
	v_cmp_gt_u32_e32 vcc, s7, v22
	v_cndmask_b32_e32 v16, v16, v8, vcc
	v_lshrrev_b32_e32 v22, 24, v16
	s_mov_b32 s0, 0x40c0100
	v_perm_b32 v16, v22, v16, s0
	v_cmp_gt_u32_e32 vcc, s7, v21
	v_cndmask_b32_e32 v16, v16, v8, vcc
	v_and_b32_e32 v16, 0xffffff, v16
	v_cmp_gt_u32_e32 vcc, s7, v20
	v_cndmask_b32_e32 v16, v16, v8, vcc
	v_and_b32_e32 v20, 0xffffff00, v9
	v_cmp_gt_u32_e32 vcc, s7, v19
	v_cndmask_b32_e32 v19, v20, v9, vcc
	v_and_b32_e32 v19, 0xffff00ff, v19
	v_cndmask_b32_e32 v16, v16, v8, vcc
	v_cmp_gt_u32_e32 vcc, s7, v18
	v_cndmask_b32_e32 v18, v19, v9, vcc
	v_lshrrev_b32_e32 v19, 24, v18
	v_cndmask_b32_e32 v16, v16, v8, vcc
	v_perm_b32 v18, v19, v18, s0
	v_cmp_gt_u32_e32 vcc, s7, v17
	v_cndmask_b32_e32 v8, v16, v8, vcc
	v_cndmask_b32_e32 v9, v18, v9, vcc
	v_mov_b32_e32 v16, 8
	v_lshrrev_b32_sdwa v16, v16, v9 dst_sel:BYTE_1 dst_unused:UNUSED_PAD src0_sel:DWORD src1_sel:DWORD
	v_or_b32_sdwa v16, v9, v16 dst_sel:DWORD dst_unused:UNUSED_PAD src0_sel:BYTE_0 src1_sel:DWORD
	v_and_b32_e32 v16, 0xffff, v16
	v_bfe_u32 v9, v9, 16, 8
	s_mov_b32 s0, 0x3020104
	v_lshl_or_b32 v9, v9, 16, v16
	v_perm_b32 v8, v8, v8, s0
.LBB3_45:
	v_and_b32_e32 v27, 0xff, v8
	v_bfe_u32 v29, v8, 8, 8
	v_bfe_u32 v31, v8, 16, 8
	v_alignbit_b32 v16, v9, v8, 24
	v_and_b32_e32 v33, 0xff, v16
	v_and_b32_e32 v34, 0xff, v9
	v_add3_u32 v17, v29, v27, v31
	v_bfe_u32 v35, v9, 8, 8
	v_bfe_u32 v16, v9, 16, 8
	v_add3_u32 v17, v17, v33, v34
	v_add3_u32 v38, v17, v35, v16
	v_mbcnt_lo_u32_b32 v16, -1, 0
	v_mbcnt_hi_u32_b32 v36, -1, v16
	v_and_b32_e32 v16, 15, v36
	v_cmp_eq_u32_e64 s[14:15], 0, v16
	v_cmp_lt_u32_e64 s[12:13], 1, v16
	v_cmp_lt_u32_e64 s[10:11], 3, v16
	s_waitcnt lgkmcnt(0)
	v_cmp_lt_u32_e64 s[8:9], 7, v16
	v_and_b32_e32 v16, 16, v36
	v_cmp_eq_u32_e64 s[2:3], 0, v16
	v_and_b32_e32 v16, 0xc0, v0
	v_min_u32_e32 v16, 0x80, v16
	v_or_b32_e32 v16, 63, v16
	v_cmp_lt_u32_e64 s[0:1], 31, v36
	v_lshrrev_b32_e32 v37, 6, v0
	v_cmp_eq_u32_e64 s[18:19], v16, v0
	s_and_b64 vcc, exec, s[30:31]
	s_barrier
	s_cbranch_vccz .LBB3_72
; %bb.46:
	v_mov_b32_dpp v16, v38 row_shr:1 row_mask:0xf bank_mask:0xf
	v_cndmask_b32_e64 v16, v16, 0, s[14:15]
	v_add_u32_e32 v16, v16, v38
	s_nop 1
	v_mov_b32_dpp v17, v16 row_shr:2 row_mask:0xf bank_mask:0xf
	v_cndmask_b32_e64 v17, 0, v17, s[12:13]
	v_add_u32_e32 v16, v16, v17
	s_nop 1
	;; [unrolled: 4-line block ×4, first 2 shown]
	v_mov_b32_dpp v17, v16 row_bcast:15 row_mask:0xf bank_mask:0xf
	v_cndmask_b32_e64 v17, v17, 0, s[2:3]
	v_add_u32_e32 v16, v16, v17
	s_nop 1
	v_mov_b32_dpp v17, v16 row_bcast:31 row_mask:0xf bank_mask:0xf
	v_cndmask_b32_e64 v17, 0, v17, s[0:1]
	v_add_u32_e32 v16, v16, v17
	s_and_saveexec_b64 s[16:17], s[18:19]
	s_cbranch_execz .LBB3_48
; %bb.47:
	v_lshlrev_b32_e32 v17, 2, v37
	ds_write_b32 v17, v16
.LBB3_48:
	s_or_b64 exec, exec, s[16:17]
	v_cmp_gt_u32_e32 vcc, 3, v0
	s_waitcnt lgkmcnt(0)
	s_barrier
	s_and_saveexec_b64 s[16:17], vcc
	s_cbranch_execz .LBB3_50
; %bb.49:
	v_lshlrev_b32_e32 v17, 2, v0
	ds_read_b32 v18, v17
	v_and_b32_e32 v19, 3, v36
	v_cmp_ne_u32_e32 vcc, 0, v19
	s_waitcnt lgkmcnt(0)
	v_mov_b32_dpp v20, v18 row_shr:1 row_mask:0xf bank_mask:0xf
	v_cndmask_b32_e32 v20, 0, v20, vcc
	v_add_u32_e32 v18, v20, v18
	v_cmp_lt_u32_e32 vcc, 1, v19
	s_nop 0
	v_mov_b32_dpp v20, v18 row_shr:2 row_mask:0xf bank_mask:0xf
	v_cndmask_b32_e32 v19, 0, v20, vcc
	v_add_u32_e32 v18, v18, v19
	ds_write_b32 v17, v18
.LBB3_50:
	s_or_b64 exec, exec, s[16:17]
	v_cmp_gt_u32_e32 vcc, 64, v0
	v_cmp_lt_u32_e64 s[16:17], 63, v0
	s_waitcnt lgkmcnt(0)
	s_barrier
	s_waitcnt lgkmcnt(0)
                                        ; implicit-def: $vgpr26
	s_and_saveexec_b64 s[30:31], s[16:17]
	s_cbranch_execz .LBB3_52
; %bb.51:
	v_lshl_add_u32 v17, v37, 2, -4
	ds_read_b32 v26, v17
	s_waitcnt lgkmcnt(0)
	v_add_u32_e32 v16, v26, v16
.LBB3_52:
	s_or_b64 exec, exec, s[30:31]
	v_add_u32_e32 v17, -1, v36
	v_and_b32_e32 v18, 64, v36
	v_cmp_lt_i32_e64 s[16:17], v17, v18
	v_cndmask_b32_e64 v17, v17, v36, s[16:17]
	v_lshlrev_b32_e32 v17, 2, v17
	ds_bpermute_b32 v28, v17, v16
	v_cmp_eq_u32_e64 s[16:17], 0, v36
	s_and_saveexec_b64 s[30:31], vcc
	s_cbranch_execz .LBB3_71
; %bb.53:
	v_mov_b32_e32 v23, 0
	ds_read_b32 v16, v23 offset:8
	s_and_saveexec_b64 s[34:35], s[16:17]
	s_cbranch_execz .LBB3_55
; %bb.54:
	s_add_i32 s36, s6, 64
	s_mov_b32 s37, 0
	s_lshl_b64 s[36:37], s[36:37], 3
	s_add_u32 s36, s28, s36
	v_mov_b32_e32 v17, 1
	s_addc_u32 s37, s29, s37
	s_waitcnt lgkmcnt(0)
	global_store_dwordx2 v23, v[16:17], s[36:37]
.LBB3_55:
	s_or_b64 exec, exec, s[34:35]
	v_xad_u32 v18, v36, -1, s6
	v_add_u32_e32 v22, 64, v18
	v_lshlrev_b64 v[20:21], 3, v[22:23]
	v_mov_b32_e32 v17, s29
	v_add_co_u32_e32 v24, vcc, s28, v20
	v_addc_co_u32_e32 v25, vcc, v17, v21, vcc
	global_load_dwordx2 v[20:21], v[24:25], off glc
	s_waitcnt vmcnt(0)
	v_cmp_eq_u16_sdwa s[36:37], v21, v23 src0_sel:BYTE_0 src1_sel:DWORD
	s_and_saveexec_b64 s[34:35], s[36:37]
	s_cbranch_execz .LBB3_59
; %bb.56:
	s_mov_b64 s[36:37], 0
	v_mov_b32_e32 v17, 0
.LBB3_57:                               ; =>This Inner Loop Header: Depth=1
	global_load_dwordx2 v[20:21], v[24:25], off glc
	s_waitcnt vmcnt(0)
	v_cmp_ne_u16_sdwa s[38:39], v21, v17 src0_sel:BYTE_0 src1_sel:DWORD
	s_or_b64 s[36:37], s[38:39], s[36:37]
	s_andn2_b64 exec, exec, s[36:37]
	s_cbranch_execnz .LBB3_57
; %bb.58:
	s_or_b64 exec, exec, s[36:37]
.LBB3_59:
	s_or_b64 exec, exec, s[34:35]
	v_and_b32_e32 v39, 63, v36
	v_mov_b32_e32 v30, 2
	v_cmp_ne_u32_e32 vcc, 63, v39
	v_cmp_eq_u16_sdwa s[34:35], v21, v30 src0_sel:BYTE_0 src1_sel:DWORD
	v_lshlrev_b64 v[22:23], v36, -1
	v_addc_co_u32_e32 v24, vcc, 0, v36, vcc
	v_and_b32_e32 v17, s35, v23
	v_lshlrev_b32_e32 v40, 2, v24
	v_or_b32_e32 v17, 0x80000000, v17
	ds_bpermute_b32 v24, v40, v20
	v_and_b32_e32 v19, s34, v22
	v_ffbl_b32_e32 v17, v17
	v_add_u32_e32 v17, 32, v17
	v_ffbl_b32_e32 v19, v19
	v_min_u32_e32 v17, v19, v17
	v_cmp_lt_u32_e32 vcc, v39, v17
	s_waitcnt lgkmcnt(0)
	v_cndmask_b32_e32 v19, 0, v24, vcc
	v_cmp_gt_u32_e32 vcc, 62, v39
	v_add_u32_e32 v19, v19, v20
	v_cndmask_b32_e64 v20, 0, 1, vcc
	v_lshlrev_b32_e32 v20, 1, v20
	v_add_lshl_u32 v41, v20, v36, 2
	ds_bpermute_b32 v20, v41, v19
	v_add_u32_e32 v42, 2, v39
	v_cmp_le_u32_e32 vcc, v42, v17
	v_add_u32_e32 v44, 4, v39
	v_add_u32_e32 v46, 8, v39
	s_waitcnt lgkmcnt(0)
	v_cndmask_b32_e32 v20, 0, v20, vcc
	v_cmp_gt_u32_e32 vcc, 60, v39
	v_add_u32_e32 v19, v19, v20
	v_cndmask_b32_e64 v20, 0, 1, vcc
	v_lshlrev_b32_e32 v20, 2, v20
	v_add_lshl_u32 v43, v20, v36, 2
	ds_bpermute_b32 v20, v43, v19
	v_cmp_le_u32_e32 vcc, v44, v17
	v_add_u32_e32 v48, 16, v39
	v_add_u32_e32 v50, 32, v39
	s_waitcnt lgkmcnt(0)
	v_cndmask_b32_e32 v20, 0, v20, vcc
	v_cmp_gt_u32_e32 vcc, 56, v39
	v_add_u32_e32 v19, v19, v20
	v_cndmask_b32_e64 v20, 0, 1, vcc
	v_lshlrev_b32_e32 v20, 3, v20
	v_add_lshl_u32 v45, v20, v36, 2
	ds_bpermute_b32 v20, v45, v19
	v_cmp_le_u32_e32 vcc, v46, v17
	s_waitcnt lgkmcnt(0)
	v_cndmask_b32_e32 v20, 0, v20, vcc
	v_cmp_gt_u32_e32 vcc, 48, v39
	v_add_u32_e32 v19, v19, v20
	v_cndmask_b32_e64 v20, 0, 1, vcc
	v_lshlrev_b32_e32 v20, 4, v20
	v_add_lshl_u32 v47, v20, v36, 2
	ds_bpermute_b32 v20, v47, v19
	v_cmp_le_u32_e32 vcc, v48, v17
	;; [unrolled: 9-line block ×3, first 2 shown]
	s_waitcnt lgkmcnt(0)
	v_cndmask_b32_e32 v17, 0, v20, vcc
	v_add_u32_e32 v20, v19, v17
	v_mov_b32_e32 v19, 0
	s_branch .LBB3_61
.LBB3_60:                               ;   in Loop: Header=BB3_61 Depth=1
	s_or_b64 exec, exec, s[34:35]
	v_cmp_eq_u16_sdwa s[34:35], v21, v30 src0_sel:BYTE_0 src1_sel:DWORD
	v_and_b32_e32 v24, s35, v23
	v_or_b32_e32 v24, 0x80000000, v24
	ds_bpermute_b32 v51, v40, v20
	v_and_b32_e32 v25, s34, v22
	v_ffbl_b32_e32 v24, v24
	v_add_u32_e32 v24, 32, v24
	v_ffbl_b32_e32 v25, v25
	v_min_u32_e32 v24, v25, v24
	v_cmp_lt_u32_e32 vcc, v39, v24
	s_waitcnt lgkmcnt(0)
	v_cndmask_b32_e32 v25, 0, v51, vcc
	v_add_u32_e32 v20, v25, v20
	ds_bpermute_b32 v25, v41, v20
	v_cmp_le_u32_e32 vcc, v42, v24
	v_subrev_u32_e32 v18, 64, v18
	s_waitcnt lgkmcnt(0)
	v_cndmask_b32_e32 v25, 0, v25, vcc
	v_add_u32_e32 v20, v20, v25
	ds_bpermute_b32 v25, v43, v20
	v_cmp_le_u32_e32 vcc, v44, v24
	s_waitcnt lgkmcnt(0)
	v_cndmask_b32_e32 v25, 0, v25, vcc
	v_add_u32_e32 v20, v20, v25
	ds_bpermute_b32 v25, v45, v20
	v_cmp_le_u32_e32 vcc, v46, v24
	;; [unrolled: 5-line block ×4, first 2 shown]
	s_waitcnt lgkmcnt(0)
	v_cndmask_b32_e32 v24, 0, v25, vcc
	v_add3_u32 v20, v24, v17, v20
.LBB3_61:                               ; =>This Loop Header: Depth=1
                                        ;     Child Loop BB3_64 Depth 2
	v_cmp_ne_u16_sdwa s[34:35], v21, v30 src0_sel:BYTE_0 src1_sel:DWORD
	v_cndmask_b32_e64 v17, 0, 1, s[34:35]
	;;#ASMSTART
	;;#ASMEND
	v_cmp_ne_u32_e32 vcc, 0, v17
	s_cmp_lg_u64 vcc, exec
	v_mov_b32_e32 v17, v20
	s_cbranch_scc1 .LBB3_66
; %bb.62:                               ;   in Loop: Header=BB3_61 Depth=1
	v_lshlrev_b64 v[20:21], 3, v[18:19]
	v_mov_b32_e32 v25, s29
	v_add_co_u32_e32 v24, vcc, s28, v20
	v_addc_co_u32_e32 v25, vcc, v25, v21, vcc
	global_load_dwordx2 v[20:21], v[24:25], off glc
	s_waitcnt vmcnt(0)
	v_cmp_eq_u16_sdwa s[36:37], v21, v19 src0_sel:BYTE_0 src1_sel:DWORD
	s_and_saveexec_b64 s[34:35], s[36:37]
	s_cbranch_execz .LBB3_60
; %bb.63:                               ;   in Loop: Header=BB3_61 Depth=1
	s_mov_b64 s[36:37], 0
.LBB3_64:                               ;   Parent Loop BB3_61 Depth=1
                                        ; =>  This Inner Loop Header: Depth=2
	global_load_dwordx2 v[20:21], v[24:25], off glc
	s_waitcnt vmcnt(0)
	v_cmp_ne_u16_sdwa s[38:39], v21, v19 src0_sel:BYTE_0 src1_sel:DWORD
	s_or_b64 s[36:37], s[38:39], s[36:37]
	s_andn2_b64 exec, exec, s[36:37]
	s_cbranch_execnz .LBB3_64
; %bb.65:                               ;   in Loop: Header=BB3_61 Depth=1
	s_or_b64 exec, exec, s[36:37]
	s_branch .LBB3_60
.LBB3_66:                               ;   in Loop: Header=BB3_61 Depth=1
                                        ; implicit-def: $vgpr20
                                        ; implicit-def: $vgpr21
	s_cbranch_execz .LBB3_61
; %bb.67:
	s_and_saveexec_b64 s[34:35], s[16:17]
	s_cbranch_execz .LBB3_69
; %bb.68:
	s_add_i32 s6, s6, 64
	s_mov_b32 s7, 0
	s_lshl_b64 s[6:7], s[6:7], 3
	s_add_u32 s6, s28, s6
	v_add_u32_e32 v18, v17, v16
	v_mov_b32_e32 v19, 2
	s_addc_u32 s7, s29, s7
	v_mov_b32_e32 v20, 0
	global_store_dwordx2 v20, v[18:19], s[6:7]
	ds_write_b64 v20, v[16:17] offset:5376
.LBB3_69:
	s_or_b64 exec, exec, s[34:35]
	v_cmp_eq_u32_e32 vcc, 0, v0
	s_and_b64 exec, exec, vcc
	s_cbranch_execz .LBB3_71
; %bb.70:
	v_mov_b32_e32 v16, 0
	ds_write_b32 v16, v17 offset:8
.LBB3_71:
	s_or_b64 exec, exec, s[30:31]
	v_mov_b32_e32 v16, 0
	s_waitcnt lgkmcnt(0)
	s_barrier
	ds_read_b32 v17, v16 offset:8
	v_cndmask_b32_e64 v18, v28, v26, s[16:17]
	v_cmp_ne_u32_e32 vcc, 0, v0
	v_cndmask_b32_e32 v18, 0, v18, vcc
	s_waitcnt lgkmcnt(0)
	v_add_u32_e32 v30, v17, v18
	v_add_u32_e32 v28, v30, v27
	s_barrier
	ds_read_b64 v[16:17], v16 offset:5376
	v_add_u32_e32 v26, v28, v29
	v_add_u32_e32 v24, v26, v31
	;; [unrolled: 1-line block ×5, first 2 shown]
	s_waitcnt lgkmcnt(0)
	v_readfirstlane_b32 s30, v16
	v_readfirstlane_b32 s16, v17
	v_lshrrev_b64 v[16:17], 24, v[8:9]
	s_branch .LBB3_82
.LBB3_72:
                                        ; implicit-def: $sgpr16
                                        ; implicit-def: $sgpr30
                                        ; implicit-def: $vgpr18
                                        ; implicit-def: $vgpr20
                                        ; implicit-def: $vgpr22
                                        ; implicit-def: $vgpr24
                                        ; implicit-def: $vgpr26
                                        ; implicit-def: $vgpr28
                                        ; implicit-def: $vgpr30
	v_lshrrev_b64 v[16:17], 24, v[8:9]
	s_cbranch_execz .LBB3_82
; %bb.73:
	s_nop 0
	v_mov_b32_dpp v17, v38 row_shr:1 row_mask:0xf bank_mask:0xf
	v_cndmask_b32_e64 v17, v17, 0, s[14:15]
	v_add_u32_e32 v17, v17, v38
	s_nop 1
	v_mov_b32_dpp v18, v17 row_shr:2 row_mask:0xf bank_mask:0xf
	v_cndmask_b32_e64 v18, 0, v18, s[12:13]
	v_add_u32_e32 v17, v17, v18
	;; [unrolled: 4-line block ×4, first 2 shown]
	s_nop 1
	v_mov_b32_dpp v18, v17 row_bcast:15 row_mask:0xf bank_mask:0xf
	v_cndmask_b32_e64 v18, v18, 0, s[2:3]
	v_add_u32_e32 v17, v17, v18
	s_nop 1
	v_mov_b32_dpp v18, v17 row_bcast:31 row_mask:0xf bank_mask:0xf
	v_cndmask_b32_e64 v18, 0, v18, s[0:1]
	v_add_u32_e32 v17, v17, v18
	s_and_saveexec_b64 s[0:1], s[18:19]
	s_cbranch_execz .LBB3_75
; %bb.74:
	v_lshlrev_b32_e32 v18, 2, v37
	ds_write_b32 v18, v17
.LBB3_75:
	s_or_b64 exec, exec, s[0:1]
	v_cmp_gt_u32_e32 vcc, 3, v0
	s_waitcnt lgkmcnt(0)
	s_barrier
	s_and_saveexec_b64 s[0:1], vcc
	s_cbranch_execz .LBB3_77
; %bb.76:
	v_lshlrev_b32_e32 v18, 2, v0
	ds_read_b32 v19, v18
	v_and_b32_e32 v20, 3, v36
	v_cmp_ne_u32_e32 vcc, 0, v20
	s_waitcnt lgkmcnt(0)
	v_mov_b32_dpp v21, v19 row_shr:1 row_mask:0xf bank_mask:0xf
	v_cndmask_b32_e32 v21, 0, v21, vcc
	v_add_u32_e32 v19, v21, v19
	v_cmp_lt_u32_e32 vcc, 1, v20
	s_nop 0
	v_mov_b32_dpp v21, v19 row_shr:2 row_mask:0xf bank_mask:0xf
	v_cndmask_b32_e32 v20, 0, v21, vcc
	v_add_u32_e32 v19, v19, v20
	ds_write_b32 v18, v19
.LBB3_77:
	s_or_b64 exec, exec, s[0:1]
	v_cmp_lt_u32_e32 vcc, 63, v0
	v_mov_b32_e32 v19, 0
	v_mov_b32_e32 v18, 0
	s_waitcnt lgkmcnt(0)
	s_barrier
	s_and_saveexec_b64 s[0:1], vcc
	s_cbranch_execz .LBB3_79
; %bb.78:
	v_lshl_add_u32 v18, v37, 2, -4
	ds_read_b32 v18, v18
.LBB3_79:
	s_or_b64 exec, exec, s[0:1]
	v_add_u32_e32 v20, -1, v36
	v_and_b32_e32 v21, 64, v36
	v_cmp_lt_i32_e32 vcc, v20, v21
	v_cndmask_b32_e32 v20, v20, v36, vcc
	s_waitcnt lgkmcnt(0)
	v_add_u32_e32 v17, v18, v17
	v_lshlrev_b32_e32 v20, 2, v20
	ds_read_b32 v19, v19 offset:8
	ds_bpermute_b32 v17, v20, v17
	s_mov_b32 s16, 0
	v_cmp_eq_u32_e32 vcc, 0, v0
	s_waitcnt lgkmcnt(1)
	v_readfirstlane_b32 s30, v19
	s_and_saveexec_b64 s[0:1], vcc
	s_cbranch_execz .LBB3_81
; %bb.80:
	v_mov_b32_e32 v19, 0
	v_mov_b32_e32 v20, s30
	v_mov_b32_e32 v21, 2
	global_store_dwordx2 v19, v[20:21], s[28:29] offset:512
.LBB3_81:
	s_or_b64 exec, exec, s[0:1]
	v_cmp_eq_u32_e64 s[0:1], 0, v36
	s_waitcnt lgkmcnt(0)
	v_cndmask_b32_e64 v17, v17, v18, s[0:1]
	v_cndmask_b32_e64 v30, v17, 0, vcc
	v_add_u32_e32 v28, v30, v27
	v_add_u32_e32 v26, v28, v29
	;; [unrolled: 1-line block ×6, first 2 shown]
	s_barrier
.LBB3_82:
	s_load_dwordx4 s[4:7], s[4:5], 0x28
	s_cmpk_lt_u32 s30, 0xc1
	s_cselect_b64 s[2:3], -1, 0
	v_lshrrev_b32_e32 v33, 8, v8
	v_lshrrev_b32_e32 v17, 8, v9
	s_mov_b64 s[0:1], -1
	s_and_b64 vcc, exec, s[2:3]
	s_cbranch_vccz .LBB3_105
; %bb.83:
	s_add_i32 s10, s16, s30
	s_lshl_b64 s[0:1], s[22:23], 2
	s_waitcnt lgkmcnt(0)
	s_add_u32 s8, s4, s0
	v_cmp_gt_u32_e32 vcc, s10, v30
	s_addc_u32 s9, s5, s1
	s_or_b64 s[12:13], s[26:27], vcc
	s_and_saveexec_b64 s[0:1], s[12:13]
	s_cbranch_execz .LBB3_86
; %bb.84:
	v_and_b32_e32 v19, 1, v8
	v_cmp_eq_u32_e32 vcc, 1, v19
	s_and_b64 exec, exec, vcc
	s_cbranch_execz .LBB3_86
; %bb.85:
	v_mov_b32_e32 v31, 0
	v_lshlrev_b64 v[34:35], 2, v[30:31]
	v_mov_b32_e32 v19, s9
	v_add_co_u32_e32 v34, vcc, s8, v34
	v_addc_co_u32_e32 v35, vcc, v19, v35, vcc
	global_store_dword v[34:35], v14, off
.LBB3_86:
	s_or_b64 exec, exec, s[0:1]
	v_cmp_gt_u32_e32 vcc, s10, v28
	s_or_b64 s[12:13], s[26:27], vcc
	s_and_saveexec_b64 s[0:1], s[12:13]
	s_cbranch_execz .LBB3_89
; %bb.87:
	v_and_b32_e32 v19, 1, v33
	v_cmp_eq_u32_e32 vcc, 1, v19
	s_and_b64 exec, exec, vcc
	s_cbranch_execz .LBB3_89
; %bb.88:
	v_mov_b32_e32 v29, 0
	v_lshlrev_b64 v[34:35], 2, v[28:29]
	v_mov_b32_e32 v19, s9
	v_add_co_u32_e32 v34, vcc, s8, v34
	v_addc_co_u32_e32 v35, vcc, v19, v35, vcc
	global_store_dword v[34:35], v15, off
.LBB3_89:
	s_or_b64 exec, exec, s[0:1]
	v_cmp_gt_u32_e32 vcc, s10, v26
	s_or_b64 s[12:13], s[26:27], vcc
	s_and_saveexec_b64 s[0:1], s[12:13]
	s_cbranch_execz .LBB3_92
; %bb.90:
	v_mov_b32_e32 v19, 1
	v_and_b32_sdwa v19, v19, v8 dst_sel:DWORD dst_unused:UNUSED_PAD src0_sel:DWORD src1_sel:WORD_1
	v_cmp_eq_u32_e32 vcc, 1, v19
	s_and_b64 exec, exec, vcc
	s_cbranch_execz .LBB3_92
; %bb.91:
	v_mov_b32_e32 v27, 0
	v_lshlrev_b64 v[34:35], 2, v[26:27]
	v_mov_b32_e32 v19, s9
	v_add_co_u32_e32 v34, vcc, s8, v34
	v_addc_co_u32_e32 v35, vcc, v19, v35, vcc
	global_store_dword v[34:35], v12, off
.LBB3_92:
	s_or_b64 exec, exec, s[0:1]
	v_cmp_gt_u32_e32 vcc, s10, v24
	s_or_b64 s[12:13], s[26:27], vcc
	s_and_saveexec_b64 s[0:1], s[12:13]
	s_cbranch_execz .LBB3_95
; %bb.93:
	v_and_b32_e32 v19, 1, v16
	v_cmp_eq_u32_e32 vcc, 1, v19
	s_and_b64 exec, exec, vcc
	s_cbranch_execz .LBB3_95
; %bb.94:
	v_mov_b32_e32 v25, 0
	v_lshlrev_b64 v[34:35], 2, v[24:25]
	v_mov_b32_e32 v19, s9
	v_add_co_u32_e32 v34, vcc, s8, v34
	v_addc_co_u32_e32 v35, vcc, v19, v35, vcc
	global_store_dword v[34:35], v13, off
.LBB3_95:
	s_or_b64 exec, exec, s[0:1]
	v_cmp_gt_u32_e32 vcc, s10, v22
	s_or_b64 s[12:13], s[26:27], vcc
	s_and_saveexec_b64 s[0:1], s[12:13]
	s_cbranch_execz .LBB3_98
; %bb.96:
	v_and_b32_e32 v19, 1, v9
	v_cmp_eq_u32_e32 vcc, 1, v19
	s_and_b64 exec, exec, vcc
	s_cbranch_execz .LBB3_98
; %bb.97:
	v_mov_b32_e32 v23, 0
	v_lshlrev_b64 v[34:35], 2, v[22:23]
	v_mov_b32_e32 v19, s9
	v_add_co_u32_e32 v34, vcc, s8, v34
	v_addc_co_u32_e32 v35, vcc, v19, v35, vcc
	global_store_dword v[34:35], v10, off
.LBB3_98:
	;; [unrolled: 18-line block ×3, first 2 shown]
	s_or_b64 exec, exec, s[0:1]
	v_cmp_gt_u32_e32 vcc, s10, v18
	s_or_b64 s[10:11], s[26:27], vcc
	s_and_saveexec_b64 s[0:1], s[10:11]
	s_cbranch_execz .LBB3_104
; %bb.102:
	v_mov_b32_e32 v19, 1
	v_and_b32_sdwa v19, v19, v9 dst_sel:DWORD dst_unused:UNUSED_PAD src0_sel:DWORD src1_sel:WORD_1
	v_cmp_eq_u32_e32 vcc, 1, v19
	s_and_b64 exec, exec, vcc
	s_cbranch_execz .LBB3_104
; %bb.103:
	v_mov_b32_e32 v19, 0
	v_lshlrev_b64 v[34:35], 2, v[18:19]
	v_mov_b32_e32 v19, s9
	v_add_co_u32_e32 v34, vcc, s8, v34
	v_addc_co_u32_e32 v35, vcc, v19, v35, vcc
	global_store_dword v[34:35], v32, off
.LBB3_104:
	s_or_b64 exec, exec, s[0:1]
	s_mov_b64 s[0:1], 0
.LBB3_105:
	v_and_b32_e32 v34, 1, v8
	s_and_b64 vcc, exec, s[0:1]
	v_cmp_eq_u32_e64 s[0:1], 1, v34
	s_cbranch_vccz .LBB3_124
; %bb.106:
	s_and_saveexec_b64 s[8:9], s[0:1]
	s_cbranch_execz .LBB3_108
; %bb.107:
	v_subrev_u32_e32 v19, s16, v30
	v_lshlrev_b32_e32 v19, 2, v19
	ds_write_b32 v19, v14
.LBB3_108:
	s_or_b64 exec, exec, s[8:9]
	v_and_b32_e32 v14, 1, v33
	v_cmp_eq_u32_e32 vcc, 1, v14
	s_and_saveexec_b64 s[0:1], vcc
	s_cbranch_execz .LBB3_110
; %bb.109:
	v_subrev_u32_e32 v14, s16, v28
	v_lshlrev_b32_e32 v14, 2, v14
	ds_write_b32 v14, v15
.LBB3_110:
	s_or_b64 exec, exec, s[0:1]
	v_mov_b32_e32 v14, 1
	v_and_b32_sdwa v14, v14, v8 dst_sel:DWORD dst_unused:UNUSED_PAD src0_sel:DWORD src1_sel:WORD_1
	v_cmp_eq_u32_e32 vcc, 1, v14
	s_and_saveexec_b64 s[0:1], vcc
	s_cbranch_execz .LBB3_112
; %bb.111:
	v_subrev_u32_e32 v14, s16, v26
	v_lshlrev_b32_e32 v14, 2, v14
	ds_write_b32 v14, v12
.LBB3_112:
	s_or_b64 exec, exec, s[0:1]
	v_and_b32_e32 v12, 1, v16
	v_cmp_eq_u32_e32 vcc, 1, v12
	s_and_saveexec_b64 s[0:1], vcc
	s_cbranch_execz .LBB3_114
; %bb.113:
	v_subrev_u32_e32 v12, s16, v24
	v_lshlrev_b32_e32 v12, 2, v12
	ds_write_b32 v12, v13
.LBB3_114:
	s_or_b64 exec, exec, s[0:1]
	v_and_b32_e32 v12, 1, v9
	;; [unrolled: 10-line block ×3, first 2 shown]
	v_cmp_eq_u32_e32 vcc, 1, v10
	s_and_saveexec_b64 s[0:1], vcc
	s_cbranch_execz .LBB3_118
; %bb.117:
	v_subrev_u32_e32 v10, s16, v20
	v_lshlrev_b32_e32 v10, 2, v10
	ds_write_b32 v10, v11
.LBB3_118:
	s_or_b64 exec, exec, s[0:1]
	v_mov_b32_e32 v10, 1
	v_and_b32_sdwa v10, v10, v9 dst_sel:DWORD dst_unused:UNUSED_PAD src0_sel:DWORD src1_sel:WORD_1
	v_cmp_eq_u32_e32 vcc, 1, v10
	s_and_saveexec_b64 s[0:1], vcc
	s_cbranch_execz .LBB3_120
; %bb.119:
	v_subrev_u32_e32 v10, s16, v18
	v_lshlrev_b32_e32 v10, 2, v10
	ds_write_b32 v10, v32
.LBB3_120:
	s_or_b64 exec, exec, s[0:1]
	v_cmp_gt_u32_e32 vcc, s30, v0
	s_waitcnt lgkmcnt(0)
	s_barrier
	s_and_saveexec_b64 s[0:1], vcc
	s_cbranch_execz .LBB3_123
; %bb.121:
	s_lshl_b64 s[8:9], s[22:23], 2
	s_mov_b32 s17, 0
	s_add_u32 s8, s4, s8
	s_addc_u32 s9, s5, s9
	s_lshl_b64 s[4:5], s[16:17], 2
	s_add_u32 s8, s8, s4
	s_addc_u32 s9, s9, s5
	v_lshlrev_b32_e32 v12, 2, v0
	s_mov_b64 s[4:5], 0
	v_mov_b32_e32 v11, 0
	v_mov_b32_e32 v13, s9
	;; [unrolled: 1-line block ×3, first 2 shown]
.LBB3_122:                              ; =>This Inner Loop Header: Depth=1
	ds_read_b32 v19, v12
	v_lshlrev_b64 v[14:15], 2, v[10:11]
	v_add_co_u32_e32 v14, vcc, s8, v14
	v_add_u32_e32 v10, 0xc0, v10
	v_addc_co_u32_e32 v15, vcc, v13, v15, vcc
	v_cmp_le_u32_e32 vcc, s30, v10
	v_add_u32_e32 v12, 0x300, v12
	s_or_b64 s[4:5], vcc, s[4:5]
	s_waitcnt lgkmcnt(0)
	global_store_dword v[14:15], v19, off
	s_andn2_b64 exec, exec, s[4:5]
	s_cbranch_execnz .LBB3_122
.LBB3_123:
	s_or_b64 exec, exec, s[0:1]
.LBB3_124:
	s_mov_b64 s[0:1], -1
	s_and_b64 vcc, exec, s[2:3]
	s_waitcnt lgkmcnt(0)
	s_barrier
	s_cbranch_vccnz .LBB3_128
; %bb.125:
	s_and_b64 vcc, exec, s[0:1]
	s_cbranch_vccnz .LBB3_150
.LBB3_126:
	v_cmp_eq_u32_e32 vcc, 0, v0
	s_and_b64 s[0:1], vcc, s[24:25]
	s_and_saveexec_b64 s[2:3], s[0:1]
	s_cbranch_execnz .LBB3_168
.LBB3_127:
	s_endpgm
.LBB3_128:
	s_add_i32 s4, s16, s30
	s_lshl_b64 s[0:1], s[22:23], 2
	s_add_u32 s2, s6, s0
	v_cmp_gt_u32_e32 vcc, s4, v30
	s_addc_u32 s3, s7, s1
	s_or_b64 s[8:9], s[26:27], vcc
	s_and_saveexec_b64 s[0:1], s[8:9]
	s_cbranch_execz .LBB3_131
; %bb.129:
	v_cmp_eq_u32_e32 vcc, 1, v34
	s_and_b64 exec, exec, vcc
	s_cbranch_execz .LBB3_131
; %bb.130:
	v_mov_b32_e32 v31, 0
	v_lshlrev_b64 v[10:11], 2, v[30:31]
	v_mov_b32_e32 v12, s3
	v_add_co_u32_e32 v10, vcc, s2, v10
	v_addc_co_u32_e32 v11, vcc, v12, v11, vcc
	global_store_dword v[10:11], v6, off
.LBB3_131:
	s_or_b64 exec, exec, s[0:1]
	v_cmp_gt_u32_e32 vcc, s4, v28
	s_or_b64 s[8:9], s[26:27], vcc
	s_and_saveexec_b64 s[0:1], s[8:9]
	s_cbranch_execz .LBB3_134
; %bb.132:
	v_and_b32_e32 v10, 1, v33
	v_cmp_eq_u32_e32 vcc, 1, v10
	s_and_b64 exec, exec, vcc
	s_cbranch_execz .LBB3_134
; %bb.133:
	v_mov_b32_e32 v29, 0
	v_lshlrev_b64 v[10:11], 2, v[28:29]
	v_mov_b32_e32 v12, s3
	v_add_co_u32_e32 v10, vcc, s2, v10
	v_addc_co_u32_e32 v11, vcc, v12, v11, vcc
	global_store_dword v[10:11], v7, off
.LBB3_134:
	s_or_b64 exec, exec, s[0:1]
	v_cmp_gt_u32_e32 vcc, s4, v26
	s_or_b64 s[8:9], s[26:27], vcc
	s_and_saveexec_b64 s[0:1], s[8:9]
	s_cbranch_execz .LBB3_137
; %bb.135:
	v_mov_b32_e32 v10, 1
	v_and_b32_sdwa v10, v10, v8 dst_sel:DWORD dst_unused:UNUSED_PAD src0_sel:DWORD src1_sel:WORD_1
	v_cmp_eq_u32_e32 vcc, 1, v10
	s_and_b64 exec, exec, vcc
	s_cbranch_execz .LBB3_137
; %bb.136:
	v_mov_b32_e32 v27, 0
	v_lshlrev_b64 v[10:11], 2, v[26:27]
	v_mov_b32_e32 v12, s3
	v_add_co_u32_e32 v10, vcc, s2, v10
	v_addc_co_u32_e32 v11, vcc, v12, v11, vcc
	global_store_dword v[10:11], v4, off
.LBB3_137:
	s_or_b64 exec, exec, s[0:1]
	v_cmp_gt_u32_e32 vcc, s4, v24
	s_or_b64 s[8:9], s[26:27], vcc
	s_and_saveexec_b64 s[0:1], s[8:9]
	s_cbranch_execz .LBB3_140
; %bb.138:
	v_and_b32_e32 v10, 1, v16
	v_cmp_eq_u32_e32 vcc, 1, v10
	s_and_b64 exec, exec, vcc
	s_cbranch_execz .LBB3_140
; %bb.139:
	v_mov_b32_e32 v25, 0
	v_lshlrev_b64 v[10:11], 2, v[24:25]
	v_mov_b32_e32 v12, s3
	v_add_co_u32_e32 v10, vcc, s2, v10
	v_addc_co_u32_e32 v11, vcc, v12, v11, vcc
	global_store_dword v[10:11], v5, off
.LBB3_140:
	s_or_b64 exec, exec, s[0:1]
	v_cmp_gt_u32_e32 vcc, s4, v22
	s_or_b64 s[8:9], s[26:27], vcc
	s_and_saveexec_b64 s[0:1], s[8:9]
	s_cbranch_execz .LBB3_143
; %bb.141:
	v_and_b32_e32 v10, 1, v9
	v_cmp_eq_u32_e32 vcc, 1, v10
	s_and_b64 exec, exec, vcc
	s_cbranch_execz .LBB3_143
; %bb.142:
	v_mov_b32_e32 v23, 0
	v_lshlrev_b64 v[10:11], 2, v[22:23]
	v_mov_b32_e32 v12, s3
	v_add_co_u32_e32 v10, vcc, s2, v10
	v_addc_co_u32_e32 v11, vcc, v12, v11, vcc
	global_store_dword v[10:11], v2, off
.LBB3_143:
	;; [unrolled: 18-line block ×3, first 2 shown]
	s_or_b64 exec, exec, s[0:1]
	v_cmp_gt_u32_e32 vcc, s4, v18
	s_or_b64 s[4:5], s[26:27], vcc
	s_and_saveexec_b64 s[0:1], s[4:5]
	s_cbranch_execz .LBB3_149
; %bb.147:
	v_mov_b32_e32 v10, 1
	v_and_b32_sdwa v10, v10, v9 dst_sel:DWORD dst_unused:UNUSED_PAD src0_sel:DWORD src1_sel:WORD_1
	v_cmp_eq_u32_e32 vcc, 1, v10
	s_and_b64 exec, exec, vcc
	s_cbranch_execz .LBB3_149
; %bb.148:
	v_mov_b32_e32 v19, 0
	v_lshlrev_b64 v[10:11], 2, v[18:19]
	v_mov_b32_e32 v12, s3
	v_add_co_u32_e32 v10, vcc, s2, v10
	v_addc_co_u32_e32 v11, vcc, v12, v11, vcc
	global_store_dword v[10:11], v1, off
.LBB3_149:
	s_or_b64 exec, exec, s[0:1]
	s_branch .LBB3_126
.LBB3_150:
	v_cmp_eq_u32_e32 vcc, 1, v34
	s_and_saveexec_b64 s[0:1], vcc
	s_cbranch_execz .LBB3_152
; %bb.151:
	v_subrev_u32_e32 v10, s16, v30
	v_lshlrev_b32_e32 v10, 2, v10
	ds_write_b32 v10, v6
.LBB3_152:
	s_or_b64 exec, exec, s[0:1]
	v_and_b32_e32 v6, 1, v33
	v_cmp_eq_u32_e32 vcc, 1, v6
	s_and_saveexec_b64 s[0:1], vcc
	s_cbranch_execz .LBB3_154
; %bb.153:
	v_subrev_u32_e32 v6, s16, v28
	v_lshlrev_b32_e32 v6, 2, v6
	ds_write_b32 v6, v7
.LBB3_154:
	s_or_b64 exec, exec, s[0:1]
	v_mov_b32_e32 v6, 1
	v_and_b32_sdwa v6, v6, v8 dst_sel:DWORD dst_unused:UNUSED_PAD src0_sel:DWORD src1_sel:WORD_1
	v_cmp_eq_u32_e32 vcc, 1, v6
	s_and_saveexec_b64 s[0:1], vcc
	s_cbranch_execz .LBB3_156
; %bb.155:
	v_subrev_u32_e32 v6, s16, v26
	v_lshlrev_b32_e32 v6, 2, v6
	ds_write_b32 v6, v4
.LBB3_156:
	s_or_b64 exec, exec, s[0:1]
	v_and_b32_e32 v4, 1, v16
	v_cmp_eq_u32_e32 vcc, 1, v4
	s_and_saveexec_b64 s[0:1], vcc
	s_cbranch_execz .LBB3_158
; %bb.157:
	v_subrev_u32_e32 v4, s16, v24
	v_lshlrev_b32_e32 v4, 2, v4
	ds_write_b32 v4, v5
.LBB3_158:
	s_or_b64 exec, exec, s[0:1]
	v_and_b32_e32 v4, 1, v9
	;; [unrolled: 10-line block ×3, first 2 shown]
	v_cmp_eq_u32_e32 vcc, 1, v2
	s_and_saveexec_b64 s[0:1], vcc
	s_cbranch_execz .LBB3_162
; %bb.161:
	v_subrev_u32_e32 v2, s16, v20
	v_lshlrev_b32_e32 v2, 2, v2
	ds_write_b32 v2, v3
.LBB3_162:
	s_or_b64 exec, exec, s[0:1]
	v_mov_b32_e32 v2, 1
	v_and_b32_sdwa v2, v2, v9 dst_sel:DWORD dst_unused:UNUSED_PAD src0_sel:DWORD src1_sel:WORD_1
	v_cmp_eq_u32_e32 vcc, 1, v2
	s_and_saveexec_b64 s[0:1], vcc
	s_cbranch_execz .LBB3_164
; %bb.163:
	v_subrev_u32_e32 v2, s16, v18
	v_lshlrev_b32_e32 v2, 2, v2
	ds_write_b32 v2, v1
.LBB3_164:
	s_or_b64 exec, exec, s[0:1]
	v_cmp_gt_u32_e32 vcc, s30, v0
	s_waitcnt lgkmcnt(0)
	s_barrier
	s_and_saveexec_b64 s[0:1], vcc
	s_cbranch_execz .LBB3_167
; %bb.165:
	s_lshl_b64 s[2:3], s[22:23], 2
	s_mov_b32 s17, 0
	s_add_u32 s4, s6, s2
	s_addc_u32 s5, s7, s3
	s_lshl_b64 s[2:3], s[16:17], 2
	s_add_u32 s4, s4, s2
	s_addc_u32 s5, s5, s3
	v_lshlrev_b32_e32 v1, 2, v0
	s_mov_b64 s[2:3], 0
	v_mov_b32_e32 v3, 0
	v_mov_b32_e32 v4, s5
	;; [unrolled: 1-line block ×3, first 2 shown]
.LBB3_166:                              ; =>This Inner Loop Header: Depth=1
	ds_read_b32 v5, v1
	v_lshlrev_b64 v[6:7], 2, v[2:3]
	v_add_co_u32_e32 v6, vcc, s4, v6
	v_add_u32_e32 v2, 0xc0, v2
	v_addc_co_u32_e32 v7, vcc, v4, v7, vcc
	v_cmp_le_u32_e32 vcc, s30, v2
	v_add_u32_e32 v1, 0x300, v1
	s_or_b64 s[2:3], vcc, s[2:3]
	s_waitcnt lgkmcnt(0)
	global_store_dword v[6:7], v5, off
	s_andn2_b64 exec, exec, s[2:3]
	s_cbranch_execnz .LBB3_166
.LBB3_167:
	s_or_b64 exec, exec, s[0:1]
	v_cmp_eq_u32_e32 vcc, 0, v0
	s_and_b64 s[0:1], vcc, s[24:25]
	s_and_saveexec_b64 s[2:3], s[0:1]
	s_cbranch_execz .LBB3_127
.LBB3_168:
	s_add_u32 s0, s22, s30
	s_addc_u32 s1, s23, 0
	s_add_u32 s0, s0, s16
	s_addc_u32 s1, s1, 0
	v_mov_b32_e32 v2, 0
	v_pk_mov_b32 v[0:1], s[0:1], s[0:1] op_sel:[0,1]
	global_store_dwordx2 v2, v[0:1], s[20:21]
	s_endpgm
.LBB3_169:
	s_or_b64 exec, exec, s[2:3]
	s_and_saveexec_b64 s[2:3], s[18:19]
	s_cbranch_execnz .LBB3_42
	s_branch .LBB3_43
	.section	.rodata,"a",@progbits
	.p2align	6, 0x0
	.amdhsa_kernel _ZN7rocprim17ROCPRIM_400000_NS6detail17trampoline_kernelINS0_14default_configENS1_25partition_config_selectorILNS1_17partition_subalgoE9EiibEEZZNS1_14partition_implILS5_9ELb0ES3_jPKiN6thrust23THRUST_200600_302600_NS17counting_iteratorIiNSB_11use_defaultESD_SD_EEPNS0_10empty_typeENS0_5tupleIJPiSF_EEENSH_IJSI_SG_EEENS0_18inequality_wrapperIN6hipcub16HIPCUB_304000_NS8EqualityEEEPlJSF_EEE10hipError_tPvRmT3_T4_T5_T6_T7_T9_mT8_P12ihipStream_tbDpT10_ENKUlT_T0_E_clISt17integral_constantIbLb0EES1A_EEDaS15_S16_EUlS15_E_NS1_11comp_targetILNS1_3genE4ELNS1_11target_archE910ELNS1_3gpuE8ELNS1_3repE0EEENS1_30default_config_static_selectorELNS0_4arch9wavefront6targetE1EEEvT1_
		.amdhsa_group_segment_fixed_size 5384
		.amdhsa_private_segment_fixed_size 0
		.amdhsa_kernarg_size 112
		.amdhsa_user_sgpr_count 6
		.amdhsa_user_sgpr_private_segment_buffer 1
		.amdhsa_user_sgpr_dispatch_ptr 0
		.amdhsa_user_sgpr_queue_ptr 0
		.amdhsa_user_sgpr_kernarg_segment_ptr 1
		.amdhsa_user_sgpr_dispatch_id 0
		.amdhsa_user_sgpr_flat_scratch_init 0
		.amdhsa_user_sgpr_kernarg_preload_length 0
		.amdhsa_user_sgpr_kernarg_preload_offset 0
		.amdhsa_user_sgpr_private_segment_size 0
		.amdhsa_uses_dynamic_stack 0
		.amdhsa_system_sgpr_private_segment_wavefront_offset 0
		.amdhsa_system_sgpr_workgroup_id_x 1
		.amdhsa_system_sgpr_workgroup_id_y 0
		.amdhsa_system_sgpr_workgroup_id_z 0
		.amdhsa_system_sgpr_workgroup_info 0
		.amdhsa_system_vgpr_workitem_id 0
		.amdhsa_next_free_vgpr 52
		.amdhsa_next_free_sgpr 40
		.amdhsa_accum_offset 52
		.amdhsa_reserve_vcc 1
		.amdhsa_reserve_flat_scratch 0
		.amdhsa_float_round_mode_32 0
		.amdhsa_float_round_mode_16_64 0
		.amdhsa_float_denorm_mode_32 3
		.amdhsa_float_denorm_mode_16_64 3
		.amdhsa_dx10_clamp 1
		.amdhsa_ieee_mode 1
		.amdhsa_fp16_overflow 0
		.amdhsa_tg_split 0
		.amdhsa_exception_fp_ieee_invalid_op 0
		.amdhsa_exception_fp_denorm_src 0
		.amdhsa_exception_fp_ieee_div_zero 0
		.amdhsa_exception_fp_ieee_overflow 0
		.amdhsa_exception_fp_ieee_underflow 0
		.amdhsa_exception_fp_ieee_inexact 0
		.amdhsa_exception_int_div_zero 0
	.end_amdhsa_kernel
	.section	.text._ZN7rocprim17ROCPRIM_400000_NS6detail17trampoline_kernelINS0_14default_configENS1_25partition_config_selectorILNS1_17partition_subalgoE9EiibEEZZNS1_14partition_implILS5_9ELb0ES3_jPKiN6thrust23THRUST_200600_302600_NS17counting_iteratorIiNSB_11use_defaultESD_SD_EEPNS0_10empty_typeENS0_5tupleIJPiSF_EEENSH_IJSI_SG_EEENS0_18inequality_wrapperIN6hipcub16HIPCUB_304000_NS8EqualityEEEPlJSF_EEE10hipError_tPvRmT3_T4_T5_T6_T7_T9_mT8_P12ihipStream_tbDpT10_ENKUlT_T0_E_clISt17integral_constantIbLb0EES1A_EEDaS15_S16_EUlS15_E_NS1_11comp_targetILNS1_3genE4ELNS1_11target_archE910ELNS1_3gpuE8ELNS1_3repE0EEENS1_30default_config_static_selectorELNS0_4arch9wavefront6targetE1EEEvT1_,"axG",@progbits,_ZN7rocprim17ROCPRIM_400000_NS6detail17trampoline_kernelINS0_14default_configENS1_25partition_config_selectorILNS1_17partition_subalgoE9EiibEEZZNS1_14partition_implILS5_9ELb0ES3_jPKiN6thrust23THRUST_200600_302600_NS17counting_iteratorIiNSB_11use_defaultESD_SD_EEPNS0_10empty_typeENS0_5tupleIJPiSF_EEENSH_IJSI_SG_EEENS0_18inequality_wrapperIN6hipcub16HIPCUB_304000_NS8EqualityEEEPlJSF_EEE10hipError_tPvRmT3_T4_T5_T6_T7_T9_mT8_P12ihipStream_tbDpT10_ENKUlT_T0_E_clISt17integral_constantIbLb0EES1A_EEDaS15_S16_EUlS15_E_NS1_11comp_targetILNS1_3genE4ELNS1_11target_archE910ELNS1_3gpuE8ELNS1_3repE0EEENS1_30default_config_static_selectorELNS0_4arch9wavefront6targetE1EEEvT1_,comdat
.Lfunc_end3:
	.size	_ZN7rocprim17ROCPRIM_400000_NS6detail17trampoline_kernelINS0_14default_configENS1_25partition_config_selectorILNS1_17partition_subalgoE9EiibEEZZNS1_14partition_implILS5_9ELb0ES3_jPKiN6thrust23THRUST_200600_302600_NS17counting_iteratorIiNSB_11use_defaultESD_SD_EEPNS0_10empty_typeENS0_5tupleIJPiSF_EEENSH_IJSI_SG_EEENS0_18inequality_wrapperIN6hipcub16HIPCUB_304000_NS8EqualityEEEPlJSF_EEE10hipError_tPvRmT3_T4_T5_T6_T7_T9_mT8_P12ihipStream_tbDpT10_ENKUlT_T0_E_clISt17integral_constantIbLb0EES1A_EEDaS15_S16_EUlS15_E_NS1_11comp_targetILNS1_3genE4ELNS1_11target_archE910ELNS1_3gpuE8ELNS1_3repE0EEENS1_30default_config_static_selectorELNS0_4arch9wavefront6targetE1EEEvT1_, .Lfunc_end3-_ZN7rocprim17ROCPRIM_400000_NS6detail17trampoline_kernelINS0_14default_configENS1_25partition_config_selectorILNS1_17partition_subalgoE9EiibEEZZNS1_14partition_implILS5_9ELb0ES3_jPKiN6thrust23THRUST_200600_302600_NS17counting_iteratorIiNSB_11use_defaultESD_SD_EEPNS0_10empty_typeENS0_5tupleIJPiSF_EEENSH_IJSI_SG_EEENS0_18inequality_wrapperIN6hipcub16HIPCUB_304000_NS8EqualityEEEPlJSF_EEE10hipError_tPvRmT3_T4_T5_T6_T7_T9_mT8_P12ihipStream_tbDpT10_ENKUlT_T0_E_clISt17integral_constantIbLb0EES1A_EEDaS15_S16_EUlS15_E_NS1_11comp_targetILNS1_3genE4ELNS1_11target_archE910ELNS1_3gpuE8ELNS1_3repE0EEENS1_30default_config_static_selectorELNS0_4arch9wavefront6targetE1EEEvT1_
                                        ; -- End function
	.section	.AMDGPU.csdata,"",@progbits
; Kernel info:
; codeLenInByte = 6400
; NumSgprs: 44
; NumVgprs: 52
; NumAgprs: 0
; TotalNumVgprs: 52
; ScratchSize: 0
; MemoryBound: 0
; FloatMode: 240
; IeeeMode: 1
; LDSByteSize: 5384 bytes/workgroup (compile time only)
; SGPRBlocks: 5
; VGPRBlocks: 6
; NumSGPRsForWavesPerEU: 44
; NumVGPRsForWavesPerEU: 52
; AccumOffset: 52
; Occupancy: 8
; WaveLimiterHint : 1
; COMPUTE_PGM_RSRC2:SCRATCH_EN: 0
; COMPUTE_PGM_RSRC2:USER_SGPR: 6
; COMPUTE_PGM_RSRC2:TRAP_HANDLER: 0
; COMPUTE_PGM_RSRC2:TGID_X_EN: 1
; COMPUTE_PGM_RSRC2:TGID_Y_EN: 0
; COMPUTE_PGM_RSRC2:TGID_Z_EN: 0
; COMPUTE_PGM_RSRC2:TIDIG_COMP_CNT: 0
; COMPUTE_PGM_RSRC3_GFX90A:ACCUM_OFFSET: 12
; COMPUTE_PGM_RSRC3_GFX90A:TG_SPLIT: 0
	.section	.text._ZN7rocprim17ROCPRIM_400000_NS6detail17trampoline_kernelINS0_14default_configENS1_25partition_config_selectorILNS1_17partition_subalgoE9EiibEEZZNS1_14partition_implILS5_9ELb0ES3_jPKiN6thrust23THRUST_200600_302600_NS17counting_iteratorIiNSB_11use_defaultESD_SD_EEPNS0_10empty_typeENS0_5tupleIJPiSF_EEENSH_IJSI_SG_EEENS0_18inequality_wrapperIN6hipcub16HIPCUB_304000_NS8EqualityEEEPlJSF_EEE10hipError_tPvRmT3_T4_T5_T6_T7_T9_mT8_P12ihipStream_tbDpT10_ENKUlT_T0_E_clISt17integral_constantIbLb0EES1A_EEDaS15_S16_EUlS15_E_NS1_11comp_targetILNS1_3genE3ELNS1_11target_archE908ELNS1_3gpuE7ELNS1_3repE0EEENS1_30default_config_static_selectorELNS0_4arch9wavefront6targetE1EEEvT1_,"axG",@progbits,_ZN7rocprim17ROCPRIM_400000_NS6detail17trampoline_kernelINS0_14default_configENS1_25partition_config_selectorILNS1_17partition_subalgoE9EiibEEZZNS1_14partition_implILS5_9ELb0ES3_jPKiN6thrust23THRUST_200600_302600_NS17counting_iteratorIiNSB_11use_defaultESD_SD_EEPNS0_10empty_typeENS0_5tupleIJPiSF_EEENSH_IJSI_SG_EEENS0_18inequality_wrapperIN6hipcub16HIPCUB_304000_NS8EqualityEEEPlJSF_EEE10hipError_tPvRmT3_T4_T5_T6_T7_T9_mT8_P12ihipStream_tbDpT10_ENKUlT_T0_E_clISt17integral_constantIbLb0EES1A_EEDaS15_S16_EUlS15_E_NS1_11comp_targetILNS1_3genE3ELNS1_11target_archE908ELNS1_3gpuE7ELNS1_3repE0EEENS1_30default_config_static_selectorELNS0_4arch9wavefront6targetE1EEEvT1_,comdat
	.protected	_ZN7rocprim17ROCPRIM_400000_NS6detail17trampoline_kernelINS0_14default_configENS1_25partition_config_selectorILNS1_17partition_subalgoE9EiibEEZZNS1_14partition_implILS5_9ELb0ES3_jPKiN6thrust23THRUST_200600_302600_NS17counting_iteratorIiNSB_11use_defaultESD_SD_EEPNS0_10empty_typeENS0_5tupleIJPiSF_EEENSH_IJSI_SG_EEENS0_18inequality_wrapperIN6hipcub16HIPCUB_304000_NS8EqualityEEEPlJSF_EEE10hipError_tPvRmT3_T4_T5_T6_T7_T9_mT8_P12ihipStream_tbDpT10_ENKUlT_T0_E_clISt17integral_constantIbLb0EES1A_EEDaS15_S16_EUlS15_E_NS1_11comp_targetILNS1_3genE3ELNS1_11target_archE908ELNS1_3gpuE7ELNS1_3repE0EEENS1_30default_config_static_selectorELNS0_4arch9wavefront6targetE1EEEvT1_ ; -- Begin function _ZN7rocprim17ROCPRIM_400000_NS6detail17trampoline_kernelINS0_14default_configENS1_25partition_config_selectorILNS1_17partition_subalgoE9EiibEEZZNS1_14partition_implILS5_9ELb0ES3_jPKiN6thrust23THRUST_200600_302600_NS17counting_iteratorIiNSB_11use_defaultESD_SD_EEPNS0_10empty_typeENS0_5tupleIJPiSF_EEENSH_IJSI_SG_EEENS0_18inequality_wrapperIN6hipcub16HIPCUB_304000_NS8EqualityEEEPlJSF_EEE10hipError_tPvRmT3_T4_T5_T6_T7_T9_mT8_P12ihipStream_tbDpT10_ENKUlT_T0_E_clISt17integral_constantIbLb0EES1A_EEDaS15_S16_EUlS15_E_NS1_11comp_targetILNS1_3genE3ELNS1_11target_archE908ELNS1_3gpuE7ELNS1_3repE0EEENS1_30default_config_static_selectorELNS0_4arch9wavefront6targetE1EEEvT1_
	.globl	_ZN7rocprim17ROCPRIM_400000_NS6detail17trampoline_kernelINS0_14default_configENS1_25partition_config_selectorILNS1_17partition_subalgoE9EiibEEZZNS1_14partition_implILS5_9ELb0ES3_jPKiN6thrust23THRUST_200600_302600_NS17counting_iteratorIiNSB_11use_defaultESD_SD_EEPNS0_10empty_typeENS0_5tupleIJPiSF_EEENSH_IJSI_SG_EEENS0_18inequality_wrapperIN6hipcub16HIPCUB_304000_NS8EqualityEEEPlJSF_EEE10hipError_tPvRmT3_T4_T5_T6_T7_T9_mT8_P12ihipStream_tbDpT10_ENKUlT_T0_E_clISt17integral_constantIbLb0EES1A_EEDaS15_S16_EUlS15_E_NS1_11comp_targetILNS1_3genE3ELNS1_11target_archE908ELNS1_3gpuE7ELNS1_3repE0EEENS1_30default_config_static_selectorELNS0_4arch9wavefront6targetE1EEEvT1_
	.p2align	8
	.type	_ZN7rocprim17ROCPRIM_400000_NS6detail17trampoline_kernelINS0_14default_configENS1_25partition_config_selectorILNS1_17partition_subalgoE9EiibEEZZNS1_14partition_implILS5_9ELb0ES3_jPKiN6thrust23THRUST_200600_302600_NS17counting_iteratorIiNSB_11use_defaultESD_SD_EEPNS0_10empty_typeENS0_5tupleIJPiSF_EEENSH_IJSI_SG_EEENS0_18inequality_wrapperIN6hipcub16HIPCUB_304000_NS8EqualityEEEPlJSF_EEE10hipError_tPvRmT3_T4_T5_T6_T7_T9_mT8_P12ihipStream_tbDpT10_ENKUlT_T0_E_clISt17integral_constantIbLb0EES1A_EEDaS15_S16_EUlS15_E_NS1_11comp_targetILNS1_3genE3ELNS1_11target_archE908ELNS1_3gpuE7ELNS1_3repE0EEENS1_30default_config_static_selectorELNS0_4arch9wavefront6targetE1EEEvT1_,@function
_ZN7rocprim17ROCPRIM_400000_NS6detail17trampoline_kernelINS0_14default_configENS1_25partition_config_selectorILNS1_17partition_subalgoE9EiibEEZZNS1_14partition_implILS5_9ELb0ES3_jPKiN6thrust23THRUST_200600_302600_NS17counting_iteratorIiNSB_11use_defaultESD_SD_EEPNS0_10empty_typeENS0_5tupleIJPiSF_EEENSH_IJSI_SG_EEENS0_18inequality_wrapperIN6hipcub16HIPCUB_304000_NS8EqualityEEEPlJSF_EEE10hipError_tPvRmT3_T4_T5_T6_T7_T9_mT8_P12ihipStream_tbDpT10_ENKUlT_T0_E_clISt17integral_constantIbLb0EES1A_EEDaS15_S16_EUlS15_E_NS1_11comp_targetILNS1_3genE3ELNS1_11target_archE908ELNS1_3gpuE7ELNS1_3repE0EEENS1_30default_config_static_selectorELNS0_4arch9wavefront6targetE1EEEvT1_: ; @_ZN7rocprim17ROCPRIM_400000_NS6detail17trampoline_kernelINS0_14default_configENS1_25partition_config_selectorILNS1_17partition_subalgoE9EiibEEZZNS1_14partition_implILS5_9ELb0ES3_jPKiN6thrust23THRUST_200600_302600_NS17counting_iteratorIiNSB_11use_defaultESD_SD_EEPNS0_10empty_typeENS0_5tupleIJPiSF_EEENSH_IJSI_SG_EEENS0_18inequality_wrapperIN6hipcub16HIPCUB_304000_NS8EqualityEEEPlJSF_EEE10hipError_tPvRmT3_T4_T5_T6_T7_T9_mT8_P12ihipStream_tbDpT10_ENKUlT_T0_E_clISt17integral_constantIbLb0EES1A_EEDaS15_S16_EUlS15_E_NS1_11comp_targetILNS1_3genE3ELNS1_11target_archE908ELNS1_3gpuE7ELNS1_3repE0EEENS1_30default_config_static_selectorELNS0_4arch9wavefront6targetE1EEEvT1_
; %bb.0:
	.section	.rodata,"a",@progbits
	.p2align	6, 0x0
	.amdhsa_kernel _ZN7rocprim17ROCPRIM_400000_NS6detail17trampoline_kernelINS0_14default_configENS1_25partition_config_selectorILNS1_17partition_subalgoE9EiibEEZZNS1_14partition_implILS5_9ELb0ES3_jPKiN6thrust23THRUST_200600_302600_NS17counting_iteratorIiNSB_11use_defaultESD_SD_EEPNS0_10empty_typeENS0_5tupleIJPiSF_EEENSH_IJSI_SG_EEENS0_18inequality_wrapperIN6hipcub16HIPCUB_304000_NS8EqualityEEEPlJSF_EEE10hipError_tPvRmT3_T4_T5_T6_T7_T9_mT8_P12ihipStream_tbDpT10_ENKUlT_T0_E_clISt17integral_constantIbLb0EES1A_EEDaS15_S16_EUlS15_E_NS1_11comp_targetILNS1_3genE3ELNS1_11target_archE908ELNS1_3gpuE7ELNS1_3repE0EEENS1_30default_config_static_selectorELNS0_4arch9wavefront6targetE1EEEvT1_
		.amdhsa_group_segment_fixed_size 0
		.amdhsa_private_segment_fixed_size 0
		.amdhsa_kernarg_size 112
		.amdhsa_user_sgpr_count 6
		.amdhsa_user_sgpr_private_segment_buffer 1
		.amdhsa_user_sgpr_dispatch_ptr 0
		.amdhsa_user_sgpr_queue_ptr 0
		.amdhsa_user_sgpr_kernarg_segment_ptr 1
		.amdhsa_user_sgpr_dispatch_id 0
		.amdhsa_user_sgpr_flat_scratch_init 0
		.amdhsa_user_sgpr_kernarg_preload_length 0
		.amdhsa_user_sgpr_kernarg_preload_offset 0
		.amdhsa_user_sgpr_private_segment_size 0
		.amdhsa_uses_dynamic_stack 0
		.amdhsa_system_sgpr_private_segment_wavefront_offset 0
		.amdhsa_system_sgpr_workgroup_id_x 1
		.amdhsa_system_sgpr_workgroup_id_y 0
		.amdhsa_system_sgpr_workgroup_id_z 0
		.amdhsa_system_sgpr_workgroup_info 0
		.amdhsa_system_vgpr_workitem_id 0
		.amdhsa_next_free_vgpr 1
		.amdhsa_next_free_sgpr 0
		.amdhsa_accum_offset 4
		.amdhsa_reserve_vcc 0
		.amdhsa_reserve_flat_scratch 0
		.amdhsa_float_round_mode_32 0
		.amdhsa_float_round_mode_16_64 0
		.amdhsa_float_denorm_mode_32 3
		.amdhsa_float_denorm_mode_16_64 3
		.amdhsa_dx10_clamp 1
		.amdhsa_ieee_mode 1
		.amdhsa_fp16_overflow 0
		.amdhsa_tg_split 0
		.amdhsa_exception_fp_ieee_invalid_op 0
		.amdhsa_exception_fp_denorm_src 0
		.amdhsa_exception_fp_ieee_div_zero 0
		.amdhsa_exception_fp_ieee_overflow 0
		.amdhsa_exception_fp_ieee_underflow 0
		.amdhsa_exception_fp_ieee_inexact 0
		.amdhsa_exception_int_div_zero 0
	.end_amdhsa_kernel
	.section	.text._ZN7rocprim17ROCPRIM_400000_NS6detail17trampoline_kernelINS0_14default_configENS1_25partition_config_selectorILNS1_17partition_subalgoE9EiibEEZZNS1_14partition_implILS5_9ELb0ES3_jPKiN6thrust23THRUST_200600_302600_NS17counting_iteratorIiNSB_11use_defaultESD_SD_EEPNS0_10empty_typeENS0_5tupleIJPiSF_EEENSH_IJSI_SG_EEENS0_18inequality_wrapperIN6hipcub16HIPCUB_304000_NS8EqualityEEEPlJSF_EEE10hipError_tPvRmT3_T4_T5_T6_T7_T9_mT8_P12ihipStream_tbDpT10_ENKUlT_T0_E_clISt17integral_constantIbLb0EES1A_EEDaS15_S16_EUlS15_E_NS1_11comp_targetILNS1_3genE3ELNS1_11target_archE908ELNS1_3gpuE7ELNS1_3repE0EEENS1_30default_config_static_selectorELNS0_4arch9wavefront6targetE1EEEvT1_,"axG",@progbits,_ZN7rocprim17ROCPRIM_400000_NS6detail17trampoline_kernelINS0_14default_configENS1_25partition_config_selectorILNS1_17partition_subalgoE9EiibEEZZNS1_14partition_implILS5_9ELb0ES3_jPKiN6thrust23THRUST_200600_302600_NS17counting_iteratorIiNSB_11use_defaultESD_SD_EEPNS0_10empty_typeENS0_5tupleIJPiSF_EEENSH_IJSI_SG_EEENS0_18inequality_wrapperIN6hipcub16HIPCUB_304000_NS8EqualityEEEPlJSF_EEE10hipError_tPvRmT3_T4_T5_T6_T7_T9_mT8_P12ihipStream_tbDpT10_ENKUlT_T0_E_clISt17integral_constantIbLb0EES1A_EEDaS15_S16_EUlS15_E_NS1_11comp_targetILNS1_3genE3ELNS1_11target_archE908ELNS1_3gpuE7ELNS1_3repE0EEENS1_30default_config_static_selectorELNS0_4arch9wavefront6targetE1EEEvT1_,comdat
.Lfunc_end4:
	.size	_ZN7rocprim17ROCPRIM_400000_NS6detail17trampoline_kernelINS0_14default_configENS1_25partition_config_selectorILNS1_17partition_subalgoE9EiibEEZZNS1_14partition_implILS5_9ELb0ES3_jPKiN6thrust23THRUST_200600_302600_NS17counting_iteratorIiNSB_11use_defaultESD_SD_EEPNS0_10empty_typeENS0_5tupleIJPiSF_EEENSH_IJSI_SG_EEENS0_18inequality_wrapperIN6hipcub16HIPCUB_304000_NS8EqualityEEEPlJSF_EEE10hipError_tPvRmT3_T4_T5_T6_T7_T9_mT8_P12ihipStream_tbDpT10_ENKUlT_T0_E_clISt17integral_constantIbLb0EES1A_EEDaS15_S16_EUlS15_E_NS1_11comp_targetILNS1_3genE3ELNS1_11target_archE908ELNS1_3gpuE7ELNS1_3repE0EEENS1_30default_config_static_selectorELNS0_4arch9wavefront6targetE1EEEvT1_, .Lfunc_end4-_ZN7rocprim17ROCPRIM_400000_NS6detail17trampoline_kernelINS0_14default_configENS1_25partition_config_selectorILNS1_17partition_subalgoE9EiibEEZZNS1_14partition_implILS5_9ELb0ES3_jPKiN6thrust23THRUST_200600_302600_NS17counting_iteratorIiNSB_11use_defaultESD_SD_EEPNS0_10empty_typeENS0_5tupleIJPiSF_EEENSH_IJSI_SG_EEENS0_18inequality_wrapperIN6hipcub16HIPCUB_304000_NS8EqualityEEEPlJSF_EEE10hipError_tPvRmT3_T4_T5_T6_T7_T9_mT8_P12ihipStream_tbDpT10_ENKUlT_T0_E_clISt17integral_constantIbLb0EES1A_EEDaS15_S16_EUlS15_E_NS1_11comp_targetILNS1_3genE3ELNS1_11target_archE908ELNS1_3gpuE7ELNS1_3repE0EEENS1_30default_config_static_selectorELNS0_4arch9wavefront6targetE1EEEvT1_
                                        ; -- End function
	.section	.AMDGPU.csdata,"",@progbits
; Kernel info:
; codeLenInByte = 0
; NumSgprs: 4
; NumVgprs: 0
; NumAgprs: 0
; TotalNumVgprs: 0
; ScratchSize: 0
; MemoryBound: 0
; FloatMode: 240
; IeeeMode: 1
; LDSByteSize: 0 bytes/workgroup (compile time only)
; SGPRBlocks: 0
; VGPRBlocks: 0
; NumSGPRsForWavesPerEU: 4
; NumVGPRsForWavesPerEU: 1
; AccumOffset: 4
; Occupancy: 8
; WaveLimiterHint : 0
; COMPUTE_PGM_RSRC2:SCRATCH_EN: 0
; COMPUTE_PGM_RSRC2:USER_SGPR: 6
; COMPUTE_PGM_RSRC2:TRAP_HANDLER: 0
; COMPUTE_PGM_RSRC2:TGID_X_EN: 1
; COMPUTE_PGM_RSRC2:TGID_Y_EN: 0
; COMPUTE_PGM_RSRC2:TGID_Z_EN: 0
; COMPUTE_PGM_RSRC2:TIDIG_COMP_CNT: 0
; COMPUTE_PGM_RSRC3_GFX90A:ACCUM_OFFSET: 0
; COMPUTE_PGM_RSRC3_GFX90A:TG_SPLIT: 0
	.section	.text._ZN7rocprim17ROCPRIM_400000_NS6detail17trampoline_kernelINS0_14default_configENS1_25partition_config_selectorILNS1_17partition_subalgoE9EiibEEZZNS1_14partition_implILS5_9ELb0ES3_jPKiN6thrust23THRUST_200600_302600_NS17counting_iteratorIiNSB_11use_defaultESD_SD_EEPNS0_10empty_typeENS0_5tupleIJPiSF_EEENSH_IJSI_SG_EEENS0_18inequality_wrapperIN6hipcub16HIPCUB_304000_NS8EqualityEEEPlJSF_EEE10hipError_tPvRmT3_T4_T5_T6_T7_T9_mT8_P12ihipStream_tbDpT10_ENKUlT_T0_E_clISt17integral_constantIbLb0EES1A_EEDaS15_S16_EUlS15_E_NS1_11comp_targetILNS1_3genE2ELNS1_11target_archE906ELNS1_3gpuE6ELNS1_3repE0EEENS1_30default_config_static_selectorELNS0_4arch9wavefront6targetE1EEEvT1_,"axG",@progbits,_ZN7rocprim17ROCPRIM_400000_NS6detail17trampoline_kernelINS0_14default_configENS1_25partition_config_selectorILNS1_17partition_subalgoE9EiibEEZZNS1_14partition_implILS5_9ELb0ES3_jPKiN6thrust23THRUST_200600_302600_NS17counting_iteratorIiNSB_11use_defaultESD_SD_EEPNS0_10empty_typeENS0_5tupleIJPiSF_EEENSH_IJSI_SG_EEENS0_18inequality_wrapperIN6hipcub16HIPCUB_304000_NS8EqualityEEEPlJSF_EEE10hipError_tPvRmT3_T4_T5_T6_T7_T9_mT8_P12ihipStream_tbDpT10_ENKUlT_T0_E_clISt17integral_constantIbLb0EES1A_EEDaS15_S16_EUlS15_E_NS1_11comp_targetILNS1_3genE2ELNS1_11target_archE906ELNS1_3gpuE6ELNS1_3repE0EEENS1_30default_config_static_selectorELNS0_4arch9wavefront6targetE1EEEvT1_,comdat
	.protected	_ZN7rocprim17ROCPRIM_400000_NS6detail17trampoline_kernelINS0_14default_configENS1_25partition_config_selectorILNS1_17partition_subalgoE9EiibEEZZNS1_14partition_implILS5_9ELb0ES3_jPKiN6thrust23THRUST_200600_302600_NS17counting_iteratorIiNSB_11use_defaultESD_SD_EEPNS0_10empty_typeENS0_5tupleIJPiSF_EEENSH_IJSI_SG_EEENS0_18inequality_wrapperIN6hipcub16HIPCUB_304000_NS8EqualityEEEPlJSF_EEE10hipError_tPvRmT3_T4_T5_T6_T7_T9_mT8_P12ihipStream_tbDpT10_ENKUlT_T0_E_clISt17integral_constantIbLb0EES1A_EEDaS15_S16_EUlS15_E_NS1_11comp_targetILNS1_3genE2ELNS1_11target_archE906ELNS1_3gpuE6ELNS1_3repE0EEENS1_30default_config_static_selectorELNS0_4arch9wavefront6targetE1EEEvT1_ ; -- Begin function _ZN7rocprim17ROCPRIM_400000_NS6detail17trampoline_kernelINS0_14default_configENS1_25partition_config_selectorILNS1_17partition_subalgoE9EiibEEZZNS1_14partition_implILS5_9ELb0ES3_jPKiN6thrust23THRUST_200600_302600_NS17counting_iteratorIiNSB_11use_defaultESD_SD_EEPNS0_10empty_typeENS0_5tupleIJPiSF_EEENSH_IJSI_SG_EEENS0_18inequality_wrapperIN6hipcub16HIPCUB_304000_NS8EqualityEEEPlJSF_EEE10hipError_tPvRmT3_T4_T5_T6_T7_T9_mT8_P12ihipStream_tbDpT10_ENKUlT_T0_E_clISt17integral_constantIbLb0EES1A_EEDaS15_S16_EUlS15_E_NS1_11comp_targetILNS1_3genE2ELNS1_11target_archE906ELNS1_3gpuE6ELNS1_3repE0EEENS1_30default_config_static_selectorELNS0_4arch9wavefront6targetE1EEEvT1_
	.globl	_ZN7rocprim17ROCPRIM_400000_NS6detail17trampoline_kernelINS0_14default_configENS1_25partition_config_selectorILNS1_17partition_subalgoE9EiibEEZZNS1_14partition_implILS5_9ELb0ES3_jPKiN6thrust23THRUST_200600_302600_NS17counting_iteratorIiNSB_11use_defaultESD_SD_EEPNS0_10empty_typeENS0_5tupleIJPiSF_EEENSH_IJSI_SG_EEENS0_18inequality_wrapperIN6hipcub16HIPCUB_304000_NS8EqualityEEEPlJSF_EEE10hipError_tPvRmT3_T4_T5_T6_T7_T9_mT8_P12ihipStream_tbDpT10_ENKUlT_T0_E_clISt17integral_constantIbLb0EES1A_EEDaS15_S16_EUlS15_E_NS1_11comp_targetILNS1_3genE2ELNS1_11target_archE906ELNS1_3gpuE6ELNS1_3repE0EEENS1_30default_config_static_selectorELNS0_4arch9wavefront6targetE1EEEvT1_
	.p2align	8
	.type	_ZN7rocprim17ROCPRIM_400000_NS6detail17trampoline_kernelINS0_14default_configENS1_25partition_config_selectorILNS1_17partition_subalgoE9EiibEEZZNS1_14partition_implILS5_9ELb0ES3_jPKiN6thrust23THRUST_200600_302600_NS17counting_iteratorIiNSB_11use_defaultESD_SD_EEPNS0_10empty_typeENS0_5tupleIJPiSF_EEENSH_IJSI_SG_EEENS0_18inequality_wrapperIN6hipcub16HIPCUB_304000_NS8EqualityEEEPlJSF_EEE10hipError_tPvRmT3_T4_T5_T6_T7_T9_mT8_P12ihipStream_tbDpT10_ENKUlT_T0_E_clISt17integral_constantIbLb0EES1A_EEDaS15_S16_EUlS15_E_NS1_11comp_targetILNS1_3genE2ELNS1_11target_archE906ELNS1_3gpuE6ELNS1_3repE0EEENS1_30default_config_static_selectorELNS0_4arch9wavefront6targetE1EEEvT1_,@function
_ZN7rocprim17ROCPRIM_400000_NS6detail17trampoline_kernelINS0_14default_configENS1_25partition_config_selectorILNS1_17partition_subalgoE9EiibEEZZNS1_14partition_implILS5_9ELb0ES3_jPKiN6thrust23THRUST_200600_302600_NS17counting_iteratorIiNSB_11use_defaultESD_SD_EEPNS0_10empty_typeENS0_5tupleIJPiSF_EEENSH_IJSI_SG_EEENS0_18inequality_wrapperIN6hipcub16HIPCUB_304000_NS8EqualityEEEPlJSF_EEE10hipError_tPvRmT3_T4_T5_T6_T7_T9_mT8_P12ihipStream_tbDpT10_ENKUlT_T0_E_clISt17integral_constantIbLb0EES1A_EEDaS15_S16_EUlS15_E_NS1_11comp_targetILNS1_3genE2ELNS1_11target_archE906ELNS1_3gpuE6ELNS1_3repE0EEENS1_30default_config_static_selectorELNS0_4arch9wavefront6targetE1EEEvT1_: ; @_ZN7rocprim17ROCPRIM_400000_NS6detail17trampoline_kernelINS0_14default_configENS1_25partition_config_selectorILNS1_17partition_subalgoE9EiibEEZZNS1_14partition_implILS5_9ELb0ES3_jPKiN6thrust23THRUST_200600_302600_NS17counting_iteratorIiNSB_11use_defaultESD_SD_EEPNS0_10empty_typeENS0_5tupleIJPiSF_EEENSH_IJSI_SG_EEENS0_18inequality_wrapperIN6hipcub16HIPCUB_304000_NS8EqualityEEEPlJSF_EEE10hipError_tPvRmT3_T4_T5_T6_T7_T9_mT8_P12ihipStream_tbDpT10_ENKUlT_T0_E_clISt17integral_constantIbLb0EES1A_EEDaS15_S16_EUlS15_E_NS1_11comp_targetILNS1_3genE2ELNS1_11target_archE906ELNS1_3gpuE6ELNS1_3repE0EEENS1_30default_config_static_selectorELNS0_4arch9wavefront6targetE1EEEvT1_
; %bb.0:
	.section	.rodata,"a",@progbits
	.p2align	6, 0x0
	.amdhsa_kernel _ZN7rocprim17ROCPRIM_400000_NS6detail17trampoline_kernelINS0_14default_configENS1_25partition_config_selectorILNS1_17partition_subalgoE9EiibEEZZNS1_14partition_implILS5_9ELb0ES3_jPKiN6thrust23THRUST_200600_302600_NS17counting_iteratorIiNSB_11use_defaultESD_SD_EEPNS0_10empty_typeENS0_5tupleIJPiSF_EEENSH_IJSI_SG_EEENS0_18inequality_wrapperIN6hipcub16HIPCUB_304000_NS8EqualityEEEPlJSF_EEE10hipError_tPvRmT3_T4_T5_T6_T7_T9_mT8_P12ihipStream_tbDpT10_ENKUlT_T0_E_clISt17integral_constantIbLb0EES1A_EEDaS15_S16_EUlS15_E_NS1_11comp_targetILNS1_3genE2ELNS1_11target_archE906ELNS1_3gpuE6ELNS1_3repE0EEENS1_30default_config_static_selectorELNS0_4arch9wavefront6targetE1EEEvT1_
		.amdhsa_group_segment_fixed_size 0
		.amdhsa_private_segment_fixed_size 0
		.amdhsa_kernarg_size 112
		.amdhsa_user_sgpr_count 6
		.amdhsa_user_sgpr_private_segment_buffer 1
		.amdhsa_user_sgpr_dispatch_ptr 0
		.amdhsa_user_sgpr_queue_ptr 0
		.amdhsa_user_sgpr_kernarg_segment_ptr 1
		.amdhsa_user_sgpr_dispatch_id 0
		.amdhsa_user_sgpr_flat_scratch_init 0
		.amdhsa_user_sgpr_kernarg_preload_length 0
		.amdhsa_user_sgpr_kernarg_preload_offset 0
		.amdhsa_user_sgpr_private_segment_size 0
		.amdhsa_uses_dynamic_stack 0
		.amdhsa_system_sgpr_private_segment_wavefront_offset 0
		.amdhsa_system_sgpr_workgroup_id_x 1
		.amdhsa_system_sgpr_workgroup_id_y 0
		.amdhsa_system_sgpr_workgroup_id_z 0
		.amdhsa_system_sgpr_workgroup_info 0
		.amdhsa_system_vgpr_workitem_id 0
		.amdhsa_next_free_vgpr 1
		.amdhsa_next_free_sgpr 0
		.amdhsa_accum_offset 4
		.amdhsa_reserve_vcc 0
		.amdhsa_reserve_flat_scratch 0
		.amdhsa_float_round_mode_32 0
		.amdhsa_float_round_mode_16_64 0
		.amdhsa_float_denorm_mode_32 3
		.amdhsa_float_denorm_mode_16_64 3
		.amdhsa_dx10_clamp 1
		.amdhsa_ieee_mode 1
		.amdhsa_fp16_overflow 0
		.amdhsa_tg_split 0
		.amdhsa_exception_fp_ieee_invalid_op 0
		.amdhsa_exception_fp_denorm_src 0
		.amdhsa_exception_fp_ieee_div_zero 0
		.amdhsa_exception_fp_ieee_overflow 0
		.amdhsa_exception_fp_ieee_underflow 0
		.amdhsa_exception_fp_ieee_inexact 0
		.amdhsa_exception_int_div_zero 0
	.end_amdhsa_kernel
	.section	.text._ZN7rocprim17ROCPRIM_400000_NS6detail17trampoline_kernelINS0_14default_configENS1_25partition_config_selectorILNS1_17partition_subalgoE9EiibEEZZNS1_14partition_implILS5_9ELb0ES3_jPKiN6thrust23THRUST_200600_302600_NS17counting_iteratorIiNSB_11use_defaultESD_SD_EEPNS0_10empty_typeENS0_5tupleIJPiSF_EEENSH_IJSI_SG_EEENS0_18inequality_wrapperIN6hipcub16HIPCUB_304000_NS8EqualityEEEPlJSF_EEE10hipError_tPvRmT3_T4_T5_T6_T7_T9_mT8_P12ihipStream_tbDpT10_ENKUlT_T0_E_clISt17integral_constantIbLb0EES1A_EEDaS15_S16_EUlS15_E_NS1_11comp_targetILNS1_3genE2ELNS1_11target_archE906ELNS1_3gpuE6ELNS1_3repE0EEENS1_30default_config_static_selectorELNS0_4arch9wavefront6targetE1EEEvT1_,"axG",@progbits,_ZN7rocprim17ROCPRIM_400000_NS6detail17trampoline_kernelINS0_14default_configENS1_25partition_config_selectorILNS1_17partition_subalgoE9EiibEEZZNS1_14partition_implILS5_9ELb0ES3_jPKiN6thrust23THRUST_200600_302600_NS17counting_iteratorIiNSB_11use_defaultESD_SD_EEPNS0_10empty_typeENS0_5tupleIJPiSF_EEENSH_IJSI_SG_EEENS0_18inequality_wrapperIN6hipcub16HIPCUB_304000_NS8EqualityEEEPlJSF_EEE10hipError_tPvRmT3_T4_T5_T6_T7_T9_mT8_P12ihipStream_tbDpT10_ENKUlT_T0_E_clISt17integral_constantIbLb0EES1A_EEDaS15_S16_EUlS15_E_NS1_11comp_targetILNS1_3genE2ELNS1_11target_archE906ELNS1_3gpuE6ELNS1_3repE0EEENS1_30default_config_static_selectorELNS0_4arch9wavefront6targetE1EEEvT1_,comdat
.Lfunc_end5:
	.size	_ZN7rocprim17ROCPRIM_400000_NS6detail17trampoline_kernelINS0_14default_configENS1_25partition_config_selectorILNS1_17partition_subalgoE9EiibEEZZNS1_14partition_implILS5_9ELb0ES3_jPKiN6thrust23THRUST_200600_302600_NS17counting_iteratorIiNSB_11use_defaultESD_SD_EEPNS0_10empty_typeENS0_5tupleIJPiSF_EEENSH_IJSI_SG_EEENS0_18inequality_wrapperIN6hipcub16HIPCUB_304000_NS8EqualityEEEPlJSF_EEE10hipError_tPvRmT3_T4_T5_T6_T7_T9_mT8_P12ihipStream_tbDpT10_ENKUlT_T0_E_clISt17integral_constantIbLb0EES1A_EEDaS15_S16_EUlS15_E_NS1_11comp_targetILNS1_3genE2ELNS1_11target_archE906ELNS1_3gpuE6ELNS1_3repE0EEENS1_30default_config_static_selectorELNS0_4arch9wavefront6targetE1EEEvT1_, .Lfunc_end5-_ZN7rocprim17ROCPRIM_400000_NS6detail17trampoline_kernelINS0_14default_configENS1_25partition_config_selectorILNS1_17partition_subalgoE9EiibEEZZNS1_14partition_implILS5_9ELb0ES3_jPKiN6thrust23THRUST_200600_302600_NS17counting_iteratorIiNSB_11use_defaultESD_SD_EEPNS0_10empty_typeENS0_5tupleIJPiSF_EEENSH_IJSI_SG_EEENS0_18inequality_wrapperIN6hipcub16HIPCUB_304000_NS8EqualityEEEPlJSF_EEE10hipError_tPvRmT3_T4_T5_T6_T7_T9_mT8_P12ihipStream_tbDpT10_ENKUlT_T0_E_clISt17integral_constantIbLb0EES1A_EEDaS15_S16_EUlS15_E_NS1_11comp_targetILNS1_3genE2ELNS1_11target_archE906ELNS1_3gpuE6ELNS1_3repE0EEENS1_30default_config_static_selectorELNS0_4arch9wavefront6targetE1EEEvT1_
                                        ; -- End function
	.section	.AMDGPU.csdata,"",@progbits
; Kernel info:
; codeLenInByte = 0
; NumSgprs: 4
; NumVgprs: 0
; NumAgprs: 0
; TotalNumVgprs: 0
; ScratchSize: 0
; MemoryBound: 0
; FloatMode: 240
; IeeeMode: 1
; LDSByteSize: 0 bytes/workgroup (compile time only)
; SGPRBlocks: 0
; VGPRBlocks: 0
; NumSGPRsForWavesPerEU: 4
; NumVGPRsForWavesPerEU: 1
; AccumOffset: 4
; Occupancy: 8
; WaveLimiterHint : 0
; COMPUTE_PGM_RSRC2:SCRATCH_EN: 0
; COMPUTE_PGM_RSRC2:USER_SGPR: 6
; COMPUTE_PGM_RSRC2:TRAP_HANDLER: 0
; COMPUTE_PGM_RSRC2:TGID_X_EN: 1
; COMPUTE_PGM_RSRC2:TGID_Y_EN: 0
; COMPUTE_PGM_RSRC2:TGID_Z_EN: 0
; COMPUTE_PGM_RSRC2:TIDIG_COMP_CNT: 0
; COMPUTE_PGM_RSRC3_GFX90A:ACCUM_OFFSET: 0
; COMPUTE_PGM_RSRC3_GFX90A:TG_SPLIT: 0
	.section	.text._ZN7rocprim17ROCPRIM_400000_NS6detail17trampoline_kernelINS0_14default_configENS1_25partition_config_selectorILNS1_17partition_subalgoE9EiibEEZZNS1_14partition_implILS5_9ELb0ES3_jPKiN6thrust23THRUST_200600_302600_NS17counting_iteratorIiNSB_11use_defaultESD_SD_EEPNS0_10empty_typeENS0_5tupleIJPiSF_EEENSH_IJSI_SG_EEENS0_18inequality_wrapperIN6hipcub16HIPCUB_304000_NS8EqualityEEEPlJSF_EEE10hipError_tPvRmT3_T4_T5_T6_T7_T9_mT8_P12ihipStream_tbDpT10_ENKUlT_T0_E_clISt17integral_constantIbLb0EES1A_EEDaS15_S16_EUlS15_E_NS1_11comp_targetILNS1_3genE10ELNS1_11target_archE1200ELNS1_3gpuE4ELNS1_3repE0EEENS1_30default_config_static_selectorELNS0_4arch9wavefront6targetE1EEEvT1_,"axG",@progbits,_ZN7rocprim17ROCPRIM_400000_NS6detail17trampoline_kernelINS0_14default_configENS1_25partition_config_selectorILNS1_17partition_subalgoE9EiibEEZZNS1_14partition_implILS5_9ELb0ES3_jPKiN6thrust23THRUST_200600_302600_NS17counting_iteratorIiNSB_11use_defaultESD_SD_EEPNS0_10empty_typeENS0_5tupleIJPiSF_EEENSH_IJSI_SG_EEENS0_18inequality_wrapperIN6hipcub16HIPCUB_304000_NS8EqualityEEEPlJSF_EEE10hipError_tPvRmT3_T4_T5_T6_T7_T9_mT8_P12ihipStream_tbDpT10_ENKUlT_T0_E_clISt17integral_constantIbLb0EES1A_EEDaS15_S16_EUlS15_E_NS1_11comp_targetILNS1_3genE10ELNS1_11target_archE1200ELNS1_3gpuE4ELNS1_3repE0EEENS1_30default_config_static_selectorELNS0_4arch9wavefront6targetE1EEEvT1_,comdat
	.protected	_ZN7rocprim17ROCPRIM_400000_NS6detail17trampoline_kernelINS0_14default_configENS1_25partition_config_selectorILNS1_17partition_subalgoE9EiibEEZZNS1_14partition_implILS5_9ELb0ES3_jPKiN6thrust23THRUST_200600_302600_NS17counting_iteratorIiNSB_11use_defaultESD_SD_EEPNS0_10empty_typeENS0_5tupleIJPiSF_EEENSH_IJSI_SG_EEENS0_18inequality_wrapperIN6hipcub16HIPCUB_304000_NS8EqualityEEEPlJSF_EEE10hipError_tPvRmT3_T4_T5_T6_T7_T9_mT8_P12ihipStream_tbDpT10_ENKUlT_T0_E_clISt17integral_constantIbLb0EES1A_EEDaS15_S16_EUlS15_E_NS1_11comp_targetILNS1_3genE10ELNS1_11target_archE1200ELNS1_3gpuE4ELNS1_3repE0EEENS1_30default_config_static_selectorELNS0_4arch9wavefront6targetE1EEEvT1_ ; -- Begin function _ZN7rocprim17ROCPRIM_400000_NS6detail17trampoline_kernelINS0_14default_configENS1_25partition_config_selectorILNS1_17partition_subalgoE9EiibEEZZNS1_14partition_implILS5_9ELb0ES3_jPKiN6thrust23THRUST_200600_302600_NS17counting_iteratorIiNSB_11use_defaultESD_SD_EEPNS0_10empty_typeENS0_5tupleIJPiSF_EEENSH_IJSI_SG_EEENS0_18inequality_wrapperIN6hipcub16HIPCUB_304000_NS8EqualityEEEPlJSF_EEE10hipError_tPvRmT3_T4_T5_T6_T7_T9_mT8_P12ihipStream_tbDpT10_ENKUlT_T0_E_clISt17integral_constantIbLb0EES1A_EEDaS15_S16_EUlS15_E_NS1_11comp_targetILNS1_3genE10ELNS1_11target_archE1200ELNS1_3gpuE4ELNS1_3repE0EEENS1_30default_config_static_selectorELNS0_4arch9wavefront6targetE1EEEvT1_
	.globl	_ZN7rocprim17ROCPRIM_400000_NS6detail17trampoline_kernelINS0_14default_configENS1_25partition_config_selectorILNS1_17partition_subalgoE9EiibEEZZNS1_14partition_implILS5_9ELb0ES3_jPKiN6thrust23THRUST_200600_302600_NS17counting_iteratorIiNSB_11use_defaultESD_SD_EEPNS0_10empty_typeENS0_5tupleIJPiSF_EEENSH_IJSI_SG_EEENS0_18inequality_wrapperIN6hipcub16HIPCUB_304000_NS8EqualityEEEPlJSF_EEE10hipError_tPvRmT3_T4_T5_T6_T7_T9_mT8_P12ihipStream_tbDpT10_ENKUlT_T0_E_clISt17integral_constantIbLb0EES1A_EEDaS15_S16_EUlS15_E_NS1_11comp_targetILNS1_3genE10ELNS1_11target_archE1200ELNS1_3gpuE4ELNS1_3repE0EEENS1_30default_config_static_selectorELNS0_4arch9wavefront6targetE1EEEvT1_
	.p2align	8
	.type	_ZN7rocprim17ROCPRIM_400000_NS6detail17trampoline_kernelINS0_14default_configENS1_25partition_config_selectorILNS1_17partition_subalgoE9EiibEEZZNS1_14partition_implILS5_9ELb0ES3_jPKiN6thrust23THRUST_200600_302600_NS17counting_iteratorIiNSB_11use_defaultESD_SD_EEPNS0_10empty_typeENS0_5tupleIJPiSF_EEENSH_IJSI_SG_EEENS0_18inequality_wrapperIN6hipcub16HIPCUB_304000_NS8EqualityEEEPlJSF_EEE10hipError_tPvRmT3_T4_T5_T6_T7_T9_mT8_P12ihipStream_tbDpT10_ENKUlT_T0_E_clISt17integral_constantIbLb0EES1A_EEDaS15_S16_EUlS15_E_NS1_11comp_targetILNS1_3genE10ELNS1_11target_archE1200ELNS1_3gpuE4ELNS1_3repE0EEENS1_30default_config_static_selectorELNS0_4arch9wavefront6targetE1EEEvT1_,@function
_ZN7rocprim17ROCPRIM_400000_NS6detail17trampoline_kernelINS0_14default_configENS1_25partition_config_selectorILNS1_17partition_subalgoE9EiibEEZZNS1_14partition_implILS5_9ELb0ES3_jPKiN6thrust23THRUST_200600_302600_NS17counting_iteratorIiNSB_11use_defaultESD_SD_EEPNS0_10empty_typeENS0_5tupleIJPiSF_EEENSH_IJSI_SG_EEENS0_18inequality_wrapperIN6hipcub16HIPCUB_304000_NS8EqualityEEEPlJSF_EEE10hipError_tPvRmT3_T4_T5_T6_T7_T9_mT8_P12ihipStream_tbDpT10_ENKUlT_T0_E_clISt17integral_constantIbLb0EES1A_EEDaS15_S16_EUlS15_E_NS1_11comp_targetILNS1_3genE10ELNS1_11target_archE1200ELNS1_3gpuE4ELNS1_3repE0EEENS1_30default_config_static_selectorELNS0_4arch9wavefront6targetE1EEEvT1_: ; @_ZN7rocprim17ROCPRIM_400000_NS6detail17trampoline_kernelINS0_14default_configENS1_25partition_config_selectorILNS1_17partition_subalgoE9EiibEEZZNS1_14partition_implILS5_9ELb0ES3_jPKiN6thrust23THRUST_200600_302600_NS17counting_iteratorIiNSB_11use_defaultESD_SD_EEPNS0_10empty_typeENS0_5tupleIJPiSF_EEENSH_IJSI_SG_EEENS0_18inequality_wrapperIN6hipcub16HIPCUB_304000_NS8EqualityEEEPlJSF_EEE10hipError_tPvRmT3_T4_T5_T6_T7_T9_mT8_P12ihipStream_tbDpT10_ENKUlT_T0_E_clISt17integral_constantIbLb0EES1A_EEDaS15_S16_EUlS15_E_NS1_11comp_targetILNS1_3genE10ELNS1_11target_archE1200ELNS1_3gpuE4ELNS1_3repE0EEENS1_30default_config_static_selectorELNS0_4arch9wavefront6targetE1EEEvT1_
; %bb.0:
	.section	.rodata,"a",@progbits
	.p2align	6, 0x0
	.amdhsa_kernel _ZN7rocprim17ROCPRIM_400000_NS6detail17trampoline_kernelINS0_14default_configENS1_25partition_config_selectorILNS1_17partition_subalgoE9EiibEEZZNS1_14partition_implILS5_9ELb0ES3_jPKiN6thrust23THRUST_200600_302600_NS17counting_iteratorIiNSB_11use_defaultESD_SD_EEPNS0_10empty_typeENS0_5tupleIJPiSF_EEENSH_IJSI_SG_EEENS0_18inequality_wrapperIN6hipcub16HIPCUB_304000_NS8EqualityEEEPlJSF_EEE10hipError_tPvRmT3_T4_T5_T6_T7_T9_mT8_P12ihipStream_tbDpT10_ENKUlT_T0_E_clISt17integral_constantIbLb0EES1A_EEDaS15_S16_EUlS15_E_NS1_11comp_targetILNS1_3genE10ELNS1_11target_archE1200ELNS1_3gpuE4ELNS1_3repE0EEENS1_30default_config_static_selectorELNS0_4arch9wavefront6targetE1EEEvT1_
		.amdhsa_group_segment_fixed_size 0
		.amdhsa_private_segment_fixed_size 0
		.amdhsa_kernarg_size 112
		.amdhsa_user_sgpr_count 6
		.amdhsa_user_sgpr_private_segment_buffer 1
		.amdhsa_user_sgpr_dispatch_ptr 0
		.amdhsa_user_sgpr_queue_ptr 0
		.amdhsa_user_sgpr_kernarg_segment_ptr 1
		.amdhsa_user_sgpr_dispatch_id 0
		.amdhsa_user_sgpr_flat_scratch_init 0
		.amdhsa_user_sgpr_kernarg_preload_length 0
		.amdhsa_user_sgpr_kernarg_preload_offset 0
		.amdhsa_user_sgpr_private_segment_size 0
		.amdhsa_uses_dynamic_stack 0
		.amdhsa_system_sgpr_private_segment_wavefront_offset 0
		.amdhsa_system_sgpr_workgroup_id_x 1
		.amdhsa_system_sgpr_workgroup_id_y 0
		.amdhsa_system_sgpr_workgroup_id_z 0
		.amdhsa_system_sgpr_workgroup_info 0
		.amdhsa_system_vgpr_workitem_id 0
		.amdhsa_next_free_vgpr 1
		.amdhsa_next_free_sgpr 0
		.amdhsa_accum_offset 4
		.amdhsa_reserve_vcc 0
		.amdhsa_reserve_flat_scratch 0
		.amdhsa_float_round_mode_32 0
		.amdhsa_float_round_mode_16_64 0
		.amdhsa_float_denorm_mode_32 3
		.amdhsa_float_denorm_mode_16_64 3
		.amdhsa_dx10_clamp 1
		.amdhsa_ieee_mode 1
		.amdhsa_fp16_overflow 0
		.amdhsa_tg_split 0
		.amdhsa_exception_fp_ieee_invalid_op 0
		.amdhsa_exception_fp_denorm_src 0
		.amdhsa_exception_fp_ieee_div_zero 0
		.amdhsa_exception_fp_ieee_overflow 0
		.amdhsa_exception_fp_ieee_underflow 0
		.amdhsa_exception_fp_ieee_inexact 0
		.amdhsa_exception_int_div_zero 0
	.end_amdhsa_kernel
	.section	.text._ZN7rocprim17ROCPRIM_400000_NS6detail17trampoline_kernelINS0_14default_configENS1_25partition_config_selectorILNS1_17partition_subalgoE9EiibEEZZNS1_14partition_implILS5_9ELb0ES3_jPKiN6thrust23THRUST_200600_302600_NS17counting_iteratorIiNSB_11use_defaultESD_SD_EEPNS0_10empty_typeENS0_5tupleIJPiSF_EEENSH_IJSI_SG_EEENS0_18inequality_wrapperIN6hipcub16HIPCUB_304000_NS8EqualityEEEPlJSF_EEE10hipError_tPvRmT3_T4_T5_T6_T7_T9_mT8_P12ihipStream_tbDpT10_ENKUlT_T0_E_clISt17integral_constantIbLb0EES1A_EEDaS15_S16_EUlS15_E_NS1_11comp_targetILNS1_3genE10ELNS1_11target_archE1200ELNS1_3gpuE4ELNS1_3repE0EEENS1_30default_config_static_selectorELNS0_4arch9wavefront6targetE1EEEvT1_,"axG",@progbits,_ZN7rocprim17ROCPRIM_400000_NS6detail17trampoline_kernelINS0_14default_configENS1_25partition_config_selectorILNS1_17partition_subalgoE9EiibEEZZNS1_14partition_implILS5_9ELb0ES3_jPKiN6thrust23THRUST_200600_302600_NS17counting_iteratorIiNSB_11use_defaultESD_SD_EEPNS0_10empty_typeENS0_5tupleIJPiSF_EEENSH_IJSI_SG_EEENS0_18inequality_wrapperIN6hipcub16HIPCUB_304000_NS8EqualityEEEPlJSF_EEE10hipError_tPvRmT3_T4_T5_T6_T7_T9_mT8_P12ihipStream_tbDpT10_ENKUlT_T0_E_clISt17integral_constantIbLb0EES1A_EEDaS15_S16_EUlS15_E_NS1_11comp_targetILNS1_3genE10ELNS1_11target_archE1200ELNS1_3gpuE4ELNS1_3repE0EEENS1_30default_config_static_selectorELNS0_4arch9wavefront6targetE1EEEvT1_,comdat
.Lfunc_end6:
	.size	_ZN7rocprim17ROCPRIM_400000_NS6detail17trampoline_kernelINS0_14default_configENS1_25partition_config_selectorILNS1_17partition_subalgoE9EiibEEZZNS1_14partition_implILS5_9ELb0ES3_jPKiN6thrust23THRUST_200600_302600_NS17counting_iteratorIiNSB_11use_defaultESD_SD_EEPNS0_10empty_typeENS0_5tupleIJPiSF_EEENSH_IJSI_SG_EEENS0_18inequality_wrapperIN6hipcub16HIPCUB_304000_NS8EqualityEEEPlJSF_EEE10hipError_tPvRmT3_T4_T5_T6_T7_T9_mT8_P12ihipStream_tbDpT10_ENKUlT_T0_E_clISt17integral_constantIbLb0EES1A_EEDaS15_S16_EUlS15_E_NS1_11comp_targetILNS1_3genE10ELNS1_11target_archE1200ELNS1_3gpuE4ELNS1_3repE0EEENS1_30default_config_static_selectorELNS0_4arch9wavefront6targetE1EEEvT1_, .Lfunc_end6-_ZN7rocprim17ROCPRIM_400000_NS6detail17trampoline_kernelINS0_14default_configENS1_25partition_config_selectorILNS1_17partition_subalgoE9EiibEEZZNS1_14partition_implILS5_9ELb0ES3_jPKiN6thrust23THRUST_200600_302600_NS17counting_iteratorIiNSB_11use_defaultESD_SD_EEPNS0_10empty_typeENS0_5tupleIJPiSF_EEENSH_IJSI_SG_EEENS0_18inequality_wrapperIN6hipcub16HIPCUB_304000_NS8EqualityEEEPlJSF_EEE10hipError_tPvRmT3_T4_T5_T6_T7_T9_mT8_P12ihipStream_tbDpT10_ENKUlT_T0_E_clISt17integral_constantIbLb0EES1A_EEDaS15_S16_EUlS15_E_NS1_11comp_targetILNS1_3genE10ELNS1_11target_archE1200ELNS1_3gpuE4ELNS1_3repE0EEENS1_30default_config_static_selectorELNS0_4arch9wavefront6targetE1EEEvT1_
                                        ; -- End function
	.section	.AMDGPU.csdata,"",@progbits
; Kernel info:
; codeLenInByte = 0
; NumSgprs: 4
; NumVgprs: 0
; NumAgprs: 0
; TotalNumVgprs: 0
; ScratchSize: 0
; MemoryBound: 0
; FloatMode: 240
; IeeeMode: 1
; LDSByteSize: 0 bytes/workgroup (compile time only)
; SGPRBlocks: 0
; VGPRBlocks: 0
; NumSGPRsForWavesPerEU: 4
; NumVGPRsForWavesPerEU: 1
; AccumOffset: 4
; Occupancy: 8
; WaveLimiterHint : 0
; COMPUTE_PGM_RSRC2:SCRATCH_EN: 0
; COMPUTE_PGM_RSRC2:USER_SGPR: 6
; COMPUTE_PGM_RSRC2:TRAP_HANDLER: 0
; COMPUTE_PGM_RSRC2:TGID_X_EN: 1
; COMPUTE_PGM_RSRC2:TGID_Y_EN: 0
; COMPUTE_PGM_RSRC2:TGID_Z_EN: 0
; COMPUTE_PGM_RSRC2:TIDIG_COMP_CNT: 0
; COMPUTE_PGM_RSRC3_GFX90A:ACCUM_OFFSET: 0
; COMPUTE_PGM_RSRC3_GFX90A:TG_SPLIT: 0
	.section	.text._ZN7rocprim17ROCPRIM_400000_NS6detail17trampoline_kernelINS0_14default_configENS1_25partition_config_selectorILNS1_17partition_subalgoE9EiibEEZZNS1_14partition_implILS5_9ELb0ES3_jPKiN6thrust23THRUST_200600_302600_NS17counting_iteratorIiNSB_11use_defaultESD_SD_EEPNS0_10empty_typeENS0_5tupleIJPiSF_EEENSH_IJSI_SG_EEENS0_18inequality_wrapperIN6hipcub16HIPCUB_304000_NS8EqualityEEEPlJSF_EEE10hipError_tPvRmT3_T4_T5_T6_T7_T9_mT8_P12ihipStream_tbDpT10_ENKUlT_T0_E_clISt17integral_constantIbLb0EES1A_EEDaS15_S16_EUlS15_E_NS1_11comp_targetILNS1_3genE9ELNS1_11target_archE1100ELNS1_3gpuE3ELNS1_3repE0EEENS1_30default_config_static_selectorELNS0_4arch9wavefront6targetE1EEEvT1_,"axG",@progbits,_ZN7rocprim17ROCPRIM_400000_NS6detail17trampoline_kernelINS0_14default_configENS1_25partition_config_selectorILNS1_17partition_subalgoE9EiibEEZZNS1_14partition_implILS5_9ELb0ES3_jPKiN6thrust23THRUST_200600_302600_NS17counting_iteratorIiNSB_11use_defaultESD_SD_EEPNS0_10empty_typeENS0_5tupleIJPiSF_EEENSH_IJSI_SG_EEENS0_18inequality_wrapperIN6hipcub16HIPCUB_304000_NS8EqualityEEEPlJSF_EEE10hipError_tPvRmT3_T4_T5_T6_T7_T9_mT8_P12ihipStream_tbDpT10_ENKUlT_T0_E_clISt17integral_constantIbLb0EES1A_EEDaS15_S16_EUlS15_E_NS1_11comp_targetILNS1_3genE9ELNS1_11target_archE1100ELNS1_3gpuE3ELNS1_3repE0EEENS1_30default_config_static_selectorELNS0_4arch9wavefront6targetE1EEEvT1_,comdat
	.protected	_ZN7rocprim17ROCPRIM_400000_NS6detail17trampoline_kernelINS0_14default_configENS1_25partition_config_selectorILNS1_17partition_subalgoE9EiibEEZZNS1_14partition_implILS5_9ELb0ES3_jPKiN6thrust23THRUST_200600_302600_NS17counting_iteratorIiNSB_11use_defaultESD_SD_EEPNS0_10empty_typeENS0_5tupleIJPiSF_EEENSH_IJSI_SG_EEENS0_18inequality_wrapperIN6hipcub16HIPCUB_304000_NS8EqualityEEEPlJSF_EEE10hipError_tPvRmT3_T4_T5_T6_T7_T9_mT8_P12ihipStream_tbDpT10_ENKUlT_T0_E_clISt17integral_constantIbLb0EES1A_EEDaS15_S16_EUlS15_E_NS1_11comp_targetILNS1_3genE9ELNS1_11target_archE1100ELNS1_3gpuE3ELNS1_3repE0EEENS1_30default_config_static_selectorELNS0_4arch9wavefront6targetE1EEEvT1_ ; -- Begin function _ZN7rocprim17ROCPRIM_400000_NS6detail17trampoline_kernelINS0_14default_configENS1_25partition_config_selectorILNS1_17partition_subalgoE9EiibEEZZNS1_14partition_implILS5_9ELb0ES3_jPKiN6thrust23THRUST_200600_302600_NS17counting_iteratorIiNSB_11use_defaultESD_SD_EEPNS0_10empty_typeENS0_5tupleIJPiSF_EEENSH_IJSI_SG_EEENS0_18inequality_wrapperIN6hipcub16HIPCUB_304000_NS8EqualityEEEPlJSF_EEE10hipError_tPvRmT3_T4_T5_T6_T7_T9_mT8_P12ihipStream_tbDpT10_ENKUlT_T0_E_clISt17integral_constantIbLb0EES1A_EEDaS15_S16_EUlS15_E_NS1_11comp_targetILNS1_3genE9ELNS1_11target_archE1100ELNS1_3gpuE3ELNS1_3repE0EEENS1_30default_config_static_selectorELNS0_4arch9wavefront6targetE1EEEvT1_
	.globl	_ZN7rocprim17ROCPRIM_400000_NS6detail17trampoline_kernelINS0_14default_configENS1_25partition_config_selectorILNS1_17partition_subalgoE9EiibEEZZNS1_14partition_implILS5_9ELb0ES3_jPKiN6thrust23THRUST_200600_302600_NS17counting_iteratorIiNSB_11use_defaultESD_SD_EEPNS0_10empty_typeENS0_5tupleIJPiSF_EEENSH_IJSI_SG_EEENS0_18inequality_wrapperIN6hipcub16HIPCUB_304000_NS8EqualityEEEPlJSF_EEE10hipError_tPvRmT3_T4_T5_T6_T7_T9_mT8_P12ihipStream_tbDpT10_ENKUlT_T0_E_clISt17integral_constantIbLb0EES1A_EEDaS15_S16_EUlS15_E_NS1_11comp_targetILNS1_3genE9ELNS1_11target_archE1100ELNS1_3gpuE3ELNS1_3repE0EEENS1_30default_config_static_selectorELNS0_4arch9wavefront6targetE1EEEvT1_
	.p2align	8
	.type	_ZN7rocprim17ROCPRIM_400000_NS6detail17trampoline_kernelINS0_14default_configENS1_25partition_config_selectorILNS1_17partition_subalgoE9EiibEEZZNS1_14partition_implILS5_9ELb0ES3_jPKiN6thrust23THRUST_200600_302600_NS17counting_iteratorIiNSB_11use_defaultESD_SD_EEPNS0_10empty_typeENS0_5tupleIJPiSF_EEENSH_IJSI_SG_EEENS0_18inequality_wrapperIN6hipcub16HIPCUB_304000_NS8EqualityEEEPlJSF_EEE10hipError_tPvRmT3_T4_T5_T6_T7_T9_mT8_P12ihipStream_tbDpT10_ENKUlT_T0_E_clISt17integral_constantIbLb0EES1A_EEDaS15_S16_EUlS15_E_NS1_11comp_targetILNS1_3genE9ELNS1_11target_archE1100ELNS1_3gpuE3ELNS1_3repE0EEENS1_30default_config_static_selectorELNS0_4arch9wavefront6targetE1EEEvT1_,@function
_ZN7rocprim17ROCPRIM_400000_NS6detail17trampoline_kernelINS0_14default_configENS1_25partition_config_selectorILNS1_17partition_subalgoE9EiibEEZZNS1_14partition_implILS5_9ELb0ES3_jPKiN6thrust23THRUST_200600_302600_NS17counting_iteratorIiNSB_11use_defaultESD_SD_EEPNS0_10empty_typeENS0_5tupleIJPiSF_EEENSH_IJSI_SG_EEENS0_18inequality_wrapperIN6hipcub16HIPCUB_304000_NS8EqualityEEEPlJSF_EEE10hipError_tPvRmT3_T4_T5_T6_T7_T9_mT8_P12ihipStream_tbDpT10_ENKUlT_T0_E_clISt17integral_constantIbLb0EES1A_EEDaS15_S16_EUlS15_E_NS1_11comp_targetILNS1_3genE9ELNS1_11target_archE1100ELNS1_3gpuE3ELNS1_3repE0EEENS1_30default_config_static_selectorELNS0_4arch9wavefront6targetE1EEEvT1_: ; @_ZN7rocprim17ROCPRIM_400000_NS6detail17trampoline_kernelINS0_14default_configENS1_25partition_config_selectorILNS1_17partition_subalgoE9EiibEEZZNS1_14partition_implILS5_9ELb0ES3_jPKiN6thrust23THRUST_200600_302600_NS17counting_iteratorIiNSB_11use_defaultESD_SD_EEPNS0_10empty_typeENS0_5tupleIJPiSF_EEENSH_IJSI_SG_EEENS0_18inequality_wrapperIN6hipcub16HIPCUB_304000_NS8EqualityEEEPlJSF_EEE10hipError_tPvRmT3_T4_T5_T6_T7_T9_mT8_P12ihipStream_tbDpT10_ENKUlT_T0_E_clISt17integral_constantIbLb0EES1A_EEDaS15_S16_EUlS15_E_NS1_11comp_targetILNS1_3genE9ELNS1_11target_archE1100ELNS1_3gpuE3ELNS1_3repE0EEENS1_30default_config_static_selectorELNS0_4arch9wavefront6targetE1EEEvT1_
; %bb.0:
	.section	.rodata,"a",@progbits
	.p2align	6, 0x0
	.amdhsa_kernel _ZN7rocprim17ROCPRIM_400000_NS6detail17trampoline_kernelINS0_14default_configENS1_25partition_config_selectorILNS1_17partition_subalgoE9EiibEEZZNS1_14partition_implILS5_9ELb0ES3_jPKiN6thrust23THRUST_200600_302600_NS17counting_iteratorIiNSB_11use_defaultESD_SD_EEPNS0_10empty_typeENS0_5tupleIJPiSF_EEENSH_IJSI_SG_EEENS0_18inequality_wrapperIN6hipcub16HIPCUB_304000_NS8EqualityEEEPlJSF_EEE10hipError_tPvRmT3_T4_T5_T6_T7_T9_mT8_P12ihipStream_tbDpT10_ENKUlT_T0_E_clISt17integral_constantIbLb0EES1A_EEDaS15_S16_EUlS15_E_NS1_11comp_targetILNS1_3genE9ELNS1_11target_archE1100ELNS1_3gpuE3ELNS1_3repE0EEENS1_30default_config_static_selectorELNS0_4arch9wavefront6targetE1EEEvT1_
		.amdhsa_group_segment_fixed_size 0
		.amdhsa_private_segment_fixed_size 0
		.amdhsa_kernarg_size 112
		.amdhsa_user_sgpr_count 6
		.amdhsa_user_sgpr_private_segment_buffer 1
		.amdhsa_user_sgpr_dispatch_ptr 0
		.amdhsa_user_sgpr_queue_ptr 0
		.amdhsa_user_sgpr_kernarg_segment_ptr 1
		.amdhsa_user_sgpr_dispatch_id 0
		.amdhsa_user_sgpr_flat_scratch_init 0
		.amdhsa_user_sgpr_kernarg_preload_length 0
		.amdhsa_user_sgpr_kernarg_preload_offset 0
		.amdhsa_user_sgpr_private_segment_size 0
		.amdhsa_uses_dynamic_stack 0
		.amdhsa_system_sgpr_private_segment_wavefront_offset 0
		.amdhsa_system_sgpr_workgroup_id_x 1
		.amdhsa_system_sgpr_workgroup_id_y 0
		.amdhsa_system_sgpr_workgroup_id_z 0
		.amdhsa_system_sgpr_workgroup_info 0
		.amdhsa_system_vgpr_workitem_id 0
		.amdhsa_next_free_vgpr 1
		.amdhsa_next_free_sgpr 0
		.amdhsa_accum_offset 4
		.amdhsa_reserve_vcc 0
		.amdhsa_reserve_flat_scratch 0
		.amdhsa_float_round_mode_32 0
		.amdhsa_float_round_mode_16_64 0
		.amdhsa_float_denorm_mode_32 3
		.amdhsa_float_denorm_mode_16_64 3
		.amdhsa_dx10_clamp 1
		.amdhsa_ieee_mode 1
		.amdhsa_fp16_overflow 0
		.amdhsa_tg_split 0
		.amdhsa_exception_fp_ieee_invalid_op 0
		.amdhsa_exception_fp_denorm_src 0
		.amdhsa_exception_fp_ieee_div_zero 0
		.amdhsa_exception_fp_ieee_overflow 0
		.amdhsa_exception_fp_ieee_underflow 0
		.amdhsa_exception_fp_ieee_inexact 0
		.amdhsa_exception_int_div_zero 0
	.end_amdhsa_kernel
	.section	.text._ZN7rocprim17ROCPRIM_400000_NS6detail17trampoline_kernelINS0_14default_configENS1_25partition_config_selectorILNS1_17partition_subalgoE9EiibEEZZNS1_14partition_implILS5_9ELb0ES3_jPKiN6thrust23THRUST_200600_302600_NS17counting_iteratorIiNSB_11use_defaultESD_SD_EEPNS0_10empty_typeENS0_5tupleIJPiSF_EEENSH_IJSI_SG_EEENS0_18inequality_wrapperIN6hipcub16HIPCUB_304000_NS8EqualityEEEPlJSF_EEE10hipError_tPvRmT3_T4_T5_T6_T7_T9_mT8_P12ihipStream_tbDpT10_ENKUlT_T0_E_clISt17integral_constantIbLb0EES1A_EEDaS15_S16_EUlS15_E_NS1_11comp_targetILNS1_3genE9ELNS1_11target_archE1100ELNS1_3gpuE3ELNS1_3repE0EEENS1_30default_config_static_selectorELNS0_4arch9wavefront6targetE1EEEvT1_,"axG",@progbits,_ZN7rocprim17ROCPRIM_400000_NS6detail17trampoline_kernelINS0_14default_configENS1_25partition_config_selectorILNS1_17partition_subalgoE9EiibEEZZNS1_14partition_implILS5_9ELb0ES3_jPKiN6thrust23THRUST_200600_302600_NS17counting_iteratorIiNSB_11use_defaultESD_SD_EEPNS0_10empty_typeENS0_5tupleIJPiSF_EEENSH_IJSI_SG_EEENS0_18inequality_wrapperIN6hipcub16HIPCUB_304000_NS8EqualityEEEPlJSF_EEE10hipError_tPvRmT3_T4_T5_T6_T7_T9_mT8_P12ihipStream_tbDpT10_ENKUlT_T0_E_clISt17integral_constantIbLb0EES1A_EEDaS15_S16_EUlS15_E_NS1_11comp_targetILNS1_3genE9ELNS1_11target_archE1100ELNS1_3gpuE3ELNS1_3repE0EEENS1_30default_config_static_selectorELNS0_4arch9wavefront6targetE1EEEvT1_,comdat
.Lfunc_end7:
	.size	_ZN7rocprim17ROCPRIM_400000_NS6detail17trampoline_kernelINS0_14default_configENS1_25partition_config_selectorILNS1_17partition_subalgoE9EiibEEZZNS1_14partition_implILS5_9ELb0ES3_jPKiN6thrust23THRUST_200600_302600_NS17counting_iteratorIiNSB_11use_defaultESD_SD_EEPNS0_10empty_typeENS0_5tupleIJPiSF_EEENSH_IJSI_SG_EEENS0_18inequality_wrapperIN6hipcub16HIPCUB_304000_NS8EqualityEEEPlJSF_EEE10hipError_tPvRmT3_T4_T5_T6_T7_T9_mT8_P12ihipStream_tbDpT10_ENKUlT_T0_E_clISt17integral_constantIbLb0EES1A_EEDaS15_S16_EUlS15_E_NS1_11comp_targetILNS1_3genE9ELNS1_11target_archE1100ELNS1_3gpuE3ELNS1_3repE0EEENS1_30default_config_static_selectorELNS0_4arch9wavefront6targetE1EEEvT1_, .Lfunc_end7-_ZN7rocprim17ROCPRIM_400000_NS6detail17trampoline_kernelINS0_14default_configENS1_25partition_config_selectorILNS1_17partition_subalgoE9EiibEEZZNS1_14partition_implILS5_9ELb0ES3_jPKiN6thrust23THRUST_200600_302600_NS17counting_iteratorIiNSB_11use_defaultESD_SD_EEPNS0_10empty_typeENS0_5tupleIJPiSF_EEENSH_IJSI_SG_EEENS0_18inequality_wrapperIN6hipcub16HIPCUB_304000_NS8EqualityEEEPlJSF_EEE10hipError_tPvRmT3_T4_T5_T6_T7_T9_mT8_P12ihipStream_tbDpT10_ENKUlT_T0_E_clISt17integral_constantIbLb0EES1A_EEDaS15_S16_EUlS15_E_NS1_11comp_targetILNS1_3genE9ELNS1_11target_archE1100ELNS1_3gpuE3ELNS1_3repE0EEENS1_30default_config_static_selectorELNS0_4arch9wavefront6targetE1EEEvT1_
                                        ; -- End function
	.section	.AMDGPU.csdata,"",@progbits
; Kernel info:
; codeLenInByte = 0
; NumSgprs: 4
; NumVgprs: 0
; NumAgprs: 0
; TotalNumVgprs: 0
; ScratchSize: 0
; MemoryBound: 0
; FloatMode: 240
; IeeeMode: 1
; LDSByteSize: 0 bytes/workgroup (compile time only)
; SGPRBlocks: 0
; VGPRBlocks: 0
; NumSGPRsForWavesPerEU: 4
; NumVGPRsForWavesPerEU: 1
; AccumOffset: 4
; Occupancy: 8
; WaveLimiterHint : 0
; COMPUTE_PGM_RSRC2:SCRATCH_EN: 0
; COMPUTE_PGM_RSRC2:USER_SGPR: 6
; COMPUTE_PGM_RSRC2:TRAP_HANDLER: 0
; COMPUTE_PGM_RSRC2:TGID_X_EN: 1
; COMPUTE_PGM_RSRC2:TGID_Y_EN: 0
; COMPUTE_PGM_RSRC2:TGID_Z_EN: 0
; COMPUTE_PGM_RSRC2:TIDIG_COMP_CNT: 0
; COMPUTE_PGM_RSRC3_GFX90A:ACCUM_OFFSET: 0
; COMPUTE_PGM_RSRC3_GFX90A:TG_SPLIT: 0
	.section	.text._ZN7rocprim17ROCPRIM_400000_NS6detail17trampoline_kernelINS0_14default_configENS1_25partition_config_selectorILNS1_17partition_subalgoE9EiibEEZZNS1_14partition_implILS5_9ELb0ES3_jPKiN6thrust23THRUST_200600_302600_NS17counting_iteratorIiNSB_11use_defaultESD_SD_EEPNS0_10empty_typeENS0_5tupleIJPiSF_EEENSH_IJSI_SG_EEENS0_18inequality_wrapperIN6hipcub16HIPCUB_304000_NS8EqualityEEEPlJSF_EEE10hipError_tPvRmT3_T4_T5_T6_T7_T9_mT8_P12ihipStream_tbDpT10_ENKUlT_T0_E_clISt17integral_constantIbLb0EES1A_EEDaS15_S16_EUlS15_E_NS1_11comp_targetILNS1_3genE8ELNS1_11target_archE1030ELNS1_3gpuE2ELNS1_3repE0EEENS1_30default_config_static_selectorELNS0_4arch9wavefront6targetE1EEEvT1_,"axG",@progbits,_ZN7rocprim17ROCPRIM_400000_NS6detail17trampoline_kernelINS0_14default_configENS1_25partition_config_selectorILNS1_17partition_subalgoE9EiibEEZZNS1_14partition_implILS5_9ELb0ES3_jPKiN6thrust23THRUST_200600_302600_NS17counting_iteratorIiNSB_11use_defaultESD_SD_EEPNS0_10empty_typeENS0_5tupleIJPiSF_EEENSH_IJSI_SG_EEENS0_18inequality_wrapperIN6hipcub16HIPCUB_304000_NS8EqualityEEEPlJSF_EEE10hipError_tPvRmT3_T4_T5_T6_T7_T9_mT8_P12ihipStream_tbDpT10_ENKUlT_T0_E_clISt17integral_constantIbLb0EES1A_EEDaS15_S16_EUlS15_E_NS1_11comp_targetILNS1_3genE8ELNS1_11target_archE1030ELNS1_3gpuE2ELNS1_3repE0EEENS1_30default_config_static_selectorELNS0_4arch9wavefront6targetE1EEEvT1_,comdat
	.protected	_ZN7rocprim17ROCPRIM_400000_NS6detail17trampoline_kernelINS0_14default_configENS1_25partition_config_selectorILNS1_17partition_subalgoE9EiibEEZZNS1_14partition_implILS5_9ELb0ES3_jPKiN6thrust23THRUST_200600_302600_NS17counting_iteratorIiNSB_11use_defaultESD_SD_EEPNS0_10empty_typeENS0_5tupleIJPiSF_EEENSH_IJSI_SG_EEENS0_18inequality_wrapperIN6hipcub16HIPCUB_304000_NS8EqualityEEEPlJSF_EEE10hipError_tPvRmT3_T4_T5_T6_T7_T9_mT8_P12ihipStream_tbDpT10_ENKUlT_T0_E_clISt17integral_constantIbLb0EES1A_EEDaS15_S16_EUlS15_E_NS1_11comp_targetILNS1_3genE8ELNS1_11target_archE1030ELNS1_3gpuE2ELNS1_3repE0EEENS1_30default_config_static_selectorELNS0_4arch9wavefront6targetE1EEEvT1_ ; -- Begin function _ZN7rocprim17ROCPRIM_400000_NS6detail17trampoline_kernelINS0_14default_configENS1_25partition_config_selectorILNS1_17partition_subalgoE9EiibEEZZNS1_14partition_implILS5_9ELb0ES3_jPKiN6thrust23THRUST_200600_302600_NS17counting_iteratorIiNSB_11use_defaultESD_SD_EEPNS0_10empty_typeENS0_5tupleIJPiSF_EEENSH_IJSI_SG_EEENS0_18inequality_wrapperIN6hipcub16HIPCUB_304000_NS8EqualityEEEPlJSF_EEE10hipError_tPvRmT3_T4_T5_T6_T7_T9_mT8_P12ihipStream_tbDpT10_ENKUlT_T0_E_clISt17integral_constantIbLb0EES1A_EEDaS15_S16_EUlS15_E_NS1_11comp_targetILNS1_3genE8ELNS1_11target_archE1030ELNS1_3gpuE2ELNS1_3repE0EEENS1_30default_config_static_selectorELNS0_4arch9wavefront6targetE1EEEvT1_
	.globl	_ZN7rocprim17ROCPRIM_400000_NS6detail17trampoline_kernelINS0_14default_configENS1_25partition_config_selectorILNS1_17partition_subalgoE9EiibEEZZNS1_14partition_implILS5_9ELb0ES3_jPKiN6thrust23THRUST_200600_302600_NS17counting_iteratorIiNSB_11use_defaultESD_SD_EEPNS0_10empty_typeENS0_5tupleIJPiSF_EEENSH_IJSI_SG_EEENS0_18inequality_wrapperIN6hipcub16HIPCUB_304000_NS8EqualityEEEPlJSF_EEE10hipError_tPvRmT3_T4_T5_T6_T7_T9_mT8_P12ihipStream_tbDpT10_ENKUlT_T0_E_clISt17integral_constantIbLb0EES1A_EEDaS15_S16_EUlS15_E_NS1_11comp_targetILNS1_3genE8ELNS1_11target_archE1030ELNS1_3gpuE2ELNS1_3repE0EEENS1_30default_config_static_selectorELNS0_4arch9wavefront6targetE1EEEvT1_
	.p2align	8
	.type	_ZN7rocprim17ROCPRIM_400000_NS6detail17trampoline_kernelINS0_14default_configENS1_25partition_config_selectorILNS1_17partition_subalgoE9EiibEEZZNS1_14partition_implILS5_9ELb0ES3_jPKiN6thrust23THRUST_200600_302600_NS17counting_iteratorIiNSB_11use_defaultESD_SD_EEPNS0_10empty_typeENS0_5tupleIJPiSF_EEENSH_IJSI_SG_EEENS0_18inequality_wrapperIN6hipcub16HIPCUB_304000_NS8EqualityEEEPlJSF_EEE10hipError_tPvRmT3_T4_T5_T6_T7_T9_mT8_P12ihipStream_tbDpT10_ENKUlT_T0_E_clISt17integral_constantIbLb0EES1A_EEDaS15_S16_EUlS15_E_NS1_11comp_targetILNS1_3genE8ELNS1_11target_archE1030ELNS1_3gpuE2ELNS1_3repE0EEENS1_30default_config_static_selectorELNS0_4arch9wavefront6targetE1EEEvT1_,@function
_ZN7rocprim17ROCPRIM_400000_NS6detail17trampoline_kernelINS0_14default_configENS1_25partition_config_selectorILNS1_17partition_subalgoE9EiibEEZZNS1_14partition_implILS5_9ELb0ES3_jPKiN6thrust23THRUST_200600_302600_NS17counting_iteratorIiNSB_11use_defaultESD_SD_EEPNS0_10empty_typeENS0_5tupleIJPiSF_EEENSH_IJSI_SG_EEENS0_18inequality_wrapperIN6hipcub16HIPCUB_304000_NS8EqualityEEEPlJSF_EEE10hipError_tPvRmT3_T4_T5_T6_T7_T9_mT8_P12ihipStream_tbDpT10_ENKUlT_T0_E_clISt17integral_constantIbLb0EES1A_EEDaS15_S16_EUlS15_E_NS1_11comp_targetILNS1_3genE8ELNS1_11target_archE1030ELNS1_3gpuE2ELNS1_3repE0EEENS1_30default_config_static_selectorELNS0_4arch9wavefront6targetE1EEEvT1_: ; @_ZN7rocprim17ROCPRIM_400000_NS6detail17trampoline_kernelINS0_14default_configENS1_25partition_config_selectorILNS1_17partition_subalgoE9EiibEEZZNS1_14partition_implILS5_9ELb0ES3_jPKiN6thrust23THRUST_200600_302600_NS17counting_iteratorIiNSB_11use_defaultESD_SD_EEPNS0_10empty_typeENS0_5tupleIJPiSF_EEENSH_IJSI_SG_EEENS0_18inequality_wrapperIN6hipcub16HIPCUB_304000_NS8EqualityEEEPlJSF_EEE10hipError_tPvRmT3_T4_T5_T6_T7_T9_mT8_P12ihipStream_tbDpT10_ENKUlT_T0_E_clISt17integral_constantIbLb0EES1A_EEDaS15_S16_EUlS15_E_NS1_11comp_targetILNS1_3genE8ELNS1_11target_archE1030ELNS1_3gpuE2ELNS1_3repE0EEENS1_30default_config_static_selectorELNS0_4arch9wavefront6targetE1EEEvT1_
; %bb.0:
	.section	.rodata,"a",@progbits
	.p2align	6, 0x0
	.amdhsa_kernel _ZN7rocprim17ROCPRIM_400000_NS6detail17trampoline_kernelINS0_14default_configENS1_25partition_config_selectorILNS1_17partition_subalgoE9EiibEEZZNS1_14partition_implILS5_9ELb0ES3_jPKiN6thrust23THRUST_200600_302600_NS17counting_iteratorIiNSB_11use_defaultESD_SD_EEPNS0_10empty_typeENS0_5tupleIJPiSF_EEENSH_IJSI_SG_EEENS0_18inequality_wrapperIN6hipcub16HIPCUB_304000_NS8EqualityEEEPlJSF_EEE10hipError_tPvRmT3_T4_T5_T6_T7_T9_mT8_P12ihipStream_tbDpT10_ENKUlT_T0_E_clISt17integral_constantIbLb0EES1A_EEDaS15_S16_EUlS15_E_NS1_11comp_targetILNS1_3genE8ELNS1_11target_archE1030ELNS1_3gpuE2ELNS1_3repE0EEENS1_30default_config_static_selectorELNS0_4arch9wavefront6targetE1EEEvT1_
		.amdhsa_group_segment_fixed_size 0
		.amdhsa_private_segment_fixed_size 0
		.amdhsa_kernarg_size 112
		.amdhsa_user_sgpr_count 6
		.amdhsa_user_sgpr_private_segment_buffer 1
		.amdhsa_user_sgpr_dispatch_ptr 0
		.amdhsa_user_sgpr_queue_ptr 0
		.amdhsa_user_sgpr_kernarg_segment_ptr 1
		.amdhsa_user_sgpr_dispatch_id 0
		.amdhsa_user_sgpr_flat_scratch_init 0
		.amdhsa_user_sgpr_kernarg_preload_length 0
		.amdhsa_user_sgpr_kernarg_preload_offset 0
		.amdhsa_user_sgpr_private_segment_size 0
		.amdhsa_uses_dynamic_stack 0
		.amdhsa_system_sgpr_private_segment_wavefront_offset 0
		.amdhsa_system_sgpr_workgroup_id_x 1
		.amdhsa_system_sgpr_workgroup_id_y 0
		.amdhsa_system_sgpr_workgroup_id_z 0
		.amdhsa_system_sgpr_workgroup_info 0
		.amdhsa_system_vgpr_workitem_id 0
		.amdhsa_next_free_vgpr 1
		.amdhsa_next_free_sgpr 0
		.amdhsa_accum_offset 4
		.amdhsa_reserve_vcc 0
		.amdhsa_reserve_flat_scratch 0
		.amdhsa_float_round_mode_32 0
		.amdhsa_float_round_mode_16_64 0
		.amdhsa_float_denorm_mode_32 3
		.amdhsa_float_denorm_mode_16_64 3
		.amdhsa_dx10_clamp 1
		.amdhsa_ieee_mode 1
		.amdhsa_fp16_overflow 0
		.amdhsa_tg_split 0
		.amdhsa_exception_fp_ieee_invalid_op 0
		.amdhsa_exception_fp_denorm_src 0
		.amdhsa_exception_fp_ieee_div_zero 0
		.amdhsa_exception_fp_ieee_overflow 0
		.amdhsa_exception_fp_ieee_underflow 0
		.amdhsa_exception_fp_ieee_inexact 0
		.amdhsa_exception_int_div_zero 0
	.end_amdhsa_kernel
	.section	.text._ZN7rocprim17ROCPRIM_400000_NS6detail17trampoline_kernelINS0_14default_configENS1_25partition_config_selectorILNS1_17partition_subalgoE9EiibEEZZNS1_14partition_implILS5_9ELb0ES3_jPKiN6thrust23THRUST_200600_302600_NS17counting_iteratorIiNSB_11use_defaultESD_SD_EEPNS0_10empty_typeENS0_5tupleIJPiSF_EEENSH_IJSI_SG_EEENS0_18inequality_wrapperIN6hipcub16HIPCUB_304000_NS8EqualityEEEPlJSF_EEE10hipError_tPvRmT3_T4_T5_T6_T7_T9_mT8_P12ihipStream_tbDpT10_ENKUlT_T0_E_clISt17integral_constantIbLb0EES1A_EEDaS15_S16_EUlS15_E_NS1_11comp_targetILNS1_3genE8ELNS1_11target_archE1030ELNS1_3gpuE2ELNS1_3repE0EEENS1_30default_config_static_selectorELNS0_4arch9wavefront6targetE1EEEvT1_,"axG",@progbits,_ZN7rocprim17ROCPRIM_400000_NS6detail17trampoline_kernelINS0_14default_configENS1_25partition_config_selectorILNS1_17partition_subalgoE9EiibEEZZNS1_14partition_implILS5_9ELb0ES3_jPKiN6thrust23THRUST_200600_302600_NS17counting_iteratorIiNSB_11use_defaultESD_SD_EEPNS0_10empty_typeENS0_5tupleIJPiSF_EEENSH_IJSI_SG_EEENS0_18inequality_wrapperIN6hipcub16HIPCUB_304000_NS8EqualityEEEPlJSF_EEE10hipError_tPvRmT3_T4_T5_T6_T7_T9_mT8_P12ihipStream_tbDpT10_ENKUlT_T0_E_clISt17integral_constantIbLb0EES1A_EEDaS15_S16_EUlS15_E_NS1_11comp_targetILNS1_3genE8ELNS1_11target_archE1030ELNS1_3gpuE2ELNS1_3repE0EEENS1_30default_config_static_selectorELNS0_4arch9wavefront6targetE1EEEvT1_,comdat
.Lfunc_end8:
	.size	_ZN7rocprim17ROCPRIM_400000_NS6detail17trampoline_kernelINS0_14default_configENS1_25partition_config_selectorILNS1_17partition_subalgoE9EiibEEZZNS1_14partition_implILS5_9ELb0ES3_jPKiN6thrust23THRUST_200600_302600_NS17counting_iteratorIiNSB_11use_defaultESD_SD_EEPNS0_10empty_typeENS0_5tupleIJPiSF_EEENSH_IJSI_SG_EEENS0_18inequality_wrapperIN6hipcub16HIPCUB_304000_NS8EqualityEEEPlJSF_EEE10hipError_tPvRmT3_T4_T5_T6_T7_T9_mT8_P12ihipStream_tbDpT10_ENKUlT_T0_E_clISt17integral_constantIbLb0EES1A_EEDaS15_S16_EUlS15_E_NS1_11comp_targetILNS1_3genE8ELNS1_11target_archE1030ELNS1_3gpuE2ELNS1_3repE0EEENS1_30default_config_static_selectorELNS0_4arch9wavefront6targetE1EEEvT1_, .Lfunc_end8-_ZN7rocprim17ROCPRIM_400000_NS6detail17trampoline_kernelINS0_14default_configENS1_25partition_config_selectorILNS1_17partition_subalgoE9EiibEEZZNS1_14partition_implILS5_9ELb0ES3_jPKiN6thrust23THRUST_200600_302600_NS17counting_iteratorIiNSB_11use_defaultESD_SD_EEPNS0_10empty_typeENS0_5tupleIJPiSF_EEENSH_IJSI_SG_EEENS0_18inequality_wrapperIN6hipcub16HIPCUB_304000_NS8EqualityEEEPlJSF_EEE10hipError_tPvRmT3_T4_T5_T6_T7_T9_mT8_P12ihipStream_tbDpT10_ENKUlT_T0_E_clISt17integral_constantIbLb0EES1A_EEDaS15_S16_EUlS15_E_NS1_11comp_targetILNS1_3genE8ELNS1_11target_archE1030ELNS1_3gpuE2ELNS1_3repE0EEENS1_30default_config_static_selectorELNS0_4arch9wavefront6targetE1EEEvT1_
                                        ; -- End function
	.section	.AMDGPU.csdata,"",@progbits
; Kernel info:
; codeLenInByte = 0
; NumSgprs: 4
; NumVgprs: 0
; NumAgprs: 0
; TotalNumVgprs: 0
; ScratchSize: 0
; MemoryBound: 0
; FloatMode: 240
; IeeeMode: 1
; LDSByteSize: 0 bytes/workgroup (compile time only)
; SGPRBlocks: 0
; VGPRBlocks: 0
; NumSGPRsForWavesPerEU: 4
; NumVGPRsForWavesPerEU: 1
; AccumOffset: 4
; Occupancy: 8
; WaveLimiterHint : 0
; COMPUTE_PGM_RSRC2:SCRATCH_EN: 0
; COMPUTE_PGM_RSRC2:USER_SGPR: 6
; COMPUTE_PGM_RSRC2:TRAP_HANDLER: 0
; COMPUTE_PGM_RSRC2:TGID_X_EN: 1
; COMPUTE_PGM_RSRC2:TGID_Y_EN: 0
; COMPUTE_PGM_RSRC2:TGID_Z_EN: 0
; COMPUTE_PGM_RSRC2:TIDIG_COMP_CNT: 0
; COMPUTE_PGM_RSRC3_GFX90A:ACCUM_OFFSET: 0
; COMPUTE_PGM_RSRC3_GFX90A:TG_SPLIT: 0
	.section	.text._ZN7rocprim17ROCPRIM_400000_NS6detail17trampoline_kernelINS0_14default_configENS1_25transform_config_selectorImLb1EEEZNS1_14transform_implILb1ES3_S5_PmPlNS0_8identityIvEEEE10hipError_tT2_T3_mT4_P12ihipStream_tbEUlT_E_NS1_11comp_targetILNS1_3genE0ELNS1_11target_archE4294967295ELNS1_3gpuE0ELNS1_3repE0EEENS1_30default_config_static_selectorELNS0_4arch9wavefront6targetE1EEEvT1_,"axG",@progbits,_ZN7rocprim17ROCPRIM_400000_NS6detail17trampoline_kernelINS0_14default_configENS1_25transform_config_selectorImLb1EEEZNS1_14transform_implILb1ES3_S5_PmPlNS0_8identityIvEEEE10hipError_tT2_T3_mT4_P12ihipStream_tbEUlT_E_NS1_11comp_targetILNS1_3genE0ELNS1_11target_archE4294967295ELNS1_3gpuE0ELNS1_3repE0EEENS1_30default_config_static_selectorELNS0_4arch9wavefront6targetE1EEEvT1_,comdat
	.protected	_ZN7rocprim17ROCPRIM_400000_NS6detail17trampoline_kernelINS0_14default_configENS1_25transform_config_selectorImLb1EEEZNS1_14transform_implILb1ES3_S5_PmPlNS0_8identityIvEEEE10hipError_tT2_T3_mT4_P12ihipStream_tbEUlT_E_NS1_11comp_targetILNS1_3genE0ELNS1_11target_archE4294967295ELNS1_3gpuE0ELNS1_3repE0EEENS1_30default_config_static_selectorELNS0_4arch9wavefront6targetE1EEEvT1_ ; -- Begin function _ZN7rocprim17ROCPRIM_400000_NS6detail17trampoline_kernelINS0_14default_configENS1_25transform_config_selectorImLb1EEEZNS1_14transform_implILb1ES3_S5_PmPlNS0_8identityIvEEEE10hipError_tT2_T3_mT4_P12ihipStream_tbEUlT_E_NS1_11comp_targetILNS1_3genE0ELNS1_11target_archE4294967295ELNS1_3gpuE0ELNS1_3repE0EEENS1_30default_config_static_selectorELNS0_4arch9wavefront6targetE1EEEvT1_
	.globl	_ZN7rocprim17ROCPRIM_400000_NS6detail17trampoline_kernelINS0_14default_configENS1_25transform_config_selectorImLb1EEEZNS1_14transform_implILb1ES3_S5_PmPlNS0_8identityIvEEEE10hipError_tT2_T3_mT4_P12ihipStream_tbEUlT_E_NS1_11comp_targetILNS1_3genE0ELNS1_11target_archE4294967295ELNS1_3gpuE0ELNS1_3repE0EEENS1_30default_config_static_selectorELNS0_4arch9wavefront6targetE1EEEvT1_
	.p2align	8
	.type	_ZN7rocprim17ROCPRIM_400000_NS6detail17trampoline_kernelINS0_14default_configENS1_25transform_config_selectorImLb1EEEZNS1_14transform_implILb1ES3_S5_PmPlNS0_8identityIvEEEE10hipError_tT2_T3_mT4_P12ihipStream_tbEUlT_E_NS1_11comp_targetILNS1_3genE0ELNS1_11target_archE4294967295ELNS1_3gpuE0ELNS1_3repE0EEENS1_30default_config_static_selectorELNS0_4arch9wavefront6targetE1EEEvT1_,@function
_ZN7rocprim17ROCPRIM_400000_NS6detail17trampoline_kernelINS0_14default_configENS1_25transform_config_selectorImLb1EEEZNS1_14transform_implILb1ES3_S5_PmPlNS0_8identityIvEEEE10hipError_tT2_T3_mT4_P12ihipStream_tbEUlT_E_NS1_11comp_targetILNS1_3genE0ELNS1_11target_archE4294967295ELNS1_3gpuE0ELNS1_3repE0EEENS1_30default_config_static_selectorELNS0_4arch9wavefront6targetE1EEEvT1_: ; @_ZN7rocprim17ROCPRIM_400000_NS6detail17trampoline_kernelINS0_14default_configENS1_25transform_config_selectorImLb1EEEZNS1_14transform_implILb1ES3_S5_PmPlNS0_8identityIvEEEE10hipError_tT2_T3_mT4_P12ihipStream_tbEUlT_E_NS1_11comp_targetILNS1_3genE0ELNS1_11target_archE4294967295ELNS1_3gpuE0ELNS1_3repE0EEENS1_30default_config_static_selectorELNS0_4arch9wavefront6targetE1EEEvT1_
; %bb.0:
	.section	.rodata,"a",@progbits
	.p2align	6, 0x0
	.amdhsa_kernel _ZN7rocprim17ROCPRIM_400000_NS6detail17trampoline_kernelINS0_14default_configENS1_25transform_config_selectorImLb1EEEZNS1_14transform_implILb1ES3_S5_PmPlNS0_8identityIvEEEE10hipError_tT2_T3_mT4_P12ihipStream_tbEUlT_E_NS1_11comp_targetILNS1_3genE0ELNS1_11target_archE4294967295ELNS1_3gpuE0ELNS1_3repE0EEENS1_30default_config_static_selectorELNS0_4arch9wavefront6targetE1EEEvT1_
		.amdhsa_group_segment_fixed_size 0
		.amdhsa_private_segment_fixed_size 0
		.amdhsa_kernarg_size 40
		.amdhsa_user_sgpr_count 6
		.amdhsa_user_sgpr_private_segment_buffer 1
		.amdhsa_user_sgpr_dispatch_ptr 0
		.amdhsa_user_sgpr_queue_ptr 0
		.amdhsa_user_sgpr_kernarg_segment_ptr 1
		.amdhsa_user_sgpr_dispatch_id 0
		.amdhsa_user_sgpr_flat_scratch_init 0
		.amdhsa_user_sgpr_kernarg_preload_length 0
		.amdhsa_user_sgpr_kernarg_preload_offset 0
		.amdhsa_user_sgpr_private_segment_size 0
		.amdhsa_uses_dynamic_stack 0
		.amdhsa_system_sgpr_private_segment_wavefront_offset 0
		.amdhsa_system_sgpr_workgroup_id_x 1
		.amdhsa_system_sgpr_workgroup_id_y 0
		.amdhsa_system_sgpr_workgroup_id_z 0
		.amdhsa_system_sgpr_workgroup_info 0
		.amdhsa_system_vgpr_workitem_id 0
		.amdhsa_next_free_vgpr 1
		.amdhsa_next_free_sgpr 0
		.amdhsa_accum_offset 4
		.amdhsa_reserve_vcc 0
		.amdhsa_reserve_flat_scratch 0
		.amdhsa_float_round_mode_32 0
		.amdhsa_float_round_mode_16_64 0
		.amdhsa_float_denorm_mode_32 3
		.amdhsa_float_denorm_mode_16_64 3
		.amdhsa_dx10_clamp 1
		.amdhsa_ieee_mode 1
		.amdhsa_fp16_overflow 0
		.amdhsa_tg_split 0
		.amdhsa_exception_fp_ieee_invalid_op 0
		.amdhsa_exception_fp_denorm_src 0
		.amdhsa_exception_fp_ieee_div_zero 0
		.amdhsa_exception_fp_ieee_overflow 0
		.amdhsa_exception_fp_ieee_underflow 0
		.amdhsa_exception_fp_ieee_inexact 0
		.amdhsa_exception_int_div_zero 0
	.end_amdhsa_kernel
	.section	.text._ZN7rocprim17ROCPRIM_400000_NS6detail17trampoline_kernelINS0_14default_configENS1_25transform_config_selectorImLb1EEEZNS1_14transform_implILb1ES3_S5_PmPlNS0_8identityIvEEEE10hipError_tT2_T3_mT4_P12ihipStream_tbEUlT_E_NS1_11comp_targetILNS1_3genE0ELNS1_11target_archE4294967295ELNS1_3gpuE0ELNS1_3repE0EEENS1_30default_config_static_selectorELNS0_4arch9wavefront6targetE1EEEvT1_,"axG",@progbits,_ZN7rocprim17ROCPRIM_400000_NS6detail17trampoline_kernelINS0_14default_configENS1_25transform_config_selectorImLb1EEEZNS1_14transform_implILb1ES3_S5_PmPlNS0_8identityIvEEEE10hipError_tT2_T3_mT4_P12ihipStream_tbEUlT_E_NS1_11comp_targetILNS1_3genE0ELNS1_11target_archE4294967295ELNS1_3gpuE0ELNS1_3repE0EEENS1_30default_config_static_selectorELNS0_4arch9wavefront6targetE1EEEvT1_,comdat
.Lfunc_end9:
	.size	_ZN7rocprim17ROCPRIM_400000_NS6detail17trampoline_kernelINS0_14default_configENS1_25transform_config_selectorImLb1EEEZNS1_14transform_implILb1ES3_S5_PmPlNS0_8identityIvEEEE10hipError_tT2_T3_mT4_P12ihipStream_tbEUlT_E_NS1_11comp_targetILNS1_3genE0ELNS1_11target_archE4294967295ELNS1_3gpuE0ELNS1_3repE0EEENS1_30default_config_static_selectorELNS0_4arch9wavefront6targetE1EEEvT1_, .Lfunc_end9-_ZN7rocprim17ROCPRIM_400000_NS6detail17trampoline_kernelINS0_14default_configENS1_25transform_config_selectorImLb1EEEZNS1_14transform_implILb1ES3_S5_PmPlNS0_8identityIvEEEE10hipError_tT2_T3_mT4_P12ihipStream_tbEUlT_E_NS1_11comp_targetILNS1_3genE0ELNS1_11target_archE4294967295ELNS1_3gpuE0ELNS1_3repE0EEENS1_30default_config_static_selectorELNS0_4arch9wavefront6targetE1EEEvT1_
                                        ; -- End function
	.section	.AMDGPU.csdata,"",@progbits
; Kernel info:
; codeLenInByte = 0
; NumSgprs: 4
; NumVgprs: 0
; NumAgprs: 0
; TotalNumVgprs: 0
; ScratchSize: 0
; MemoryBound: 0
; FloatMode: 240
; IeeeMode: 1
; LDSByteSize: 0 bytes/workgroup (compile time only)
; SGPRBlocks: 0
; VGPRBlocks: 0
; NumSGPRsForWavesPerEU: 4
; NumVGPRsForWavesPerEU: 1
; AccumOffset: 4
; Occupancy: 8
; WaveLimiterHint : 0
; COMPUTE_PGM_RSRC2:SCRATCH_EN: 0
; COMPUTE_PGM_RSRC2:USER_SGPR: 6
; COMPUTE_PGM_RSRC2:TRAP_HANDLER: 0
; COMPUTE_PGM_RSRC2:TGID_X_EN: 1
; COMPUTE_PGM_RSRC2:TGID_Y_EN: 0
; COMPUTE_PGM_RSRC2:TGID_Z_EN: 0
; COMPUTE_PGM_RSRC2:TIDIG_COMP_CNT: 0
; COMPUTE_PGM_RSRC3_GFX90A:ACCUM_OFFSET: 0
; COMPUTE_PGM_RSRC3_GFX90A:TG_SPLIT: 0
	.section	.text._ZN7rocprim17ROCPRIM_400000_NS6detail17trampoline_kernelINS0_14default_configENS1_25transform_config_selectorImLb1EEEZNS1_14transform_implILb1ES3_S5_PmPlNS0_8identityIvEEEE10hipError_tT2_T3_mT4_P12ihipStream_tbEUlT_E_NS1_11comp_targetILNS1_3genE10ELNS1_11target_archE1201ELNS1_3gpuE5ELNS1_3repE0EEENS1_30default_config_static_selectorELNS0_4arch9wavefront6targetE1EEEvT1_,"axG",@progbits,_ZN7rocprim17ROCPRIM_400000_NS6detail17trampoline_kernelINS0_14default_configENS1_25transform_config_selectorImLb1EEEZNS1_14transform_implILb1ES3_S5_PmPlNS0_8identityIvEEEE10hipError_tT2_T3_mT4_P12ihipStream_tbEUlT_E_NS1_11comp_targetILNS1_3genE10ELNS1_11target_archE1201ELNS1_3gpuE5ELNS1_3repE0EEENS1_30default_config_static_selectorELNS0_4arch9wavefront6targetE1EEEvT1_,comdat
	.protected	_ZN7rocprim17ROCPRIM_400000_NS6detail17trampoline_kernelINS0_14default_configENS1_25transform_config_selectorImLb1EEEZNS1_14transform_implILb1ES3_S5_PmPlNS0_8identityIvEEEE10hipError_tT2_T3_mT4_P12ihipStream_tbEUlT_E_NS1_11comp_targetILNS1_3genE10ELNS1_11target_archE1201ELNS1_3gpuE5ELNS1_3repE0EEENS1_30default_config_static_selectorELNS0_4arch9wavefront6targetE1EEEvT1_ ; -- Begin function _ZN7rocprim17ROCPRIM_400000_NS6detail17trampoline_kernelINS0_14default_configENS1_25transform_config_selectorImLb1EEEZNS1_14transform_implILb1ES3_S5_PmPlNS0_8identityIvEEEE10hipError_tT2_T3_mT4_P12ihipStream_tbEUlT_E_NS1_11comp_targetILNS1_3genE10ELNS1_11target_archE1201ELNS1_3gpuE5ELNS1_3repE0EEENS1_30default_config_static_selectorELNS0_4arch9wavefront6targetE1EEEvT1_
	.globl	_ZN7rocprim17ROCPRIM_400000_NS6detail17trampoline_kernelINS0_14default_configENS1_25transform_config_selectorImLb1EEEZNS1_14transform_implILb1ES3_S5_PmPlNS0_8identityIvEEEE10hipError_tT2_T3_mT4_P12ihipStream_tbEUlT_E_NS1_11comp_targetILNS1_3genE10ELNS1_11target_archE1201ELNS1_3gpuE5ELNS1_3repE0EEENS1_30default_config_static_selectorELNS0_4arch9wavefront6targetE1EEEvT1_
	.p2align	8
	.type	_ZN7rocprim17ROCPRIM_400000_NS6detail17trampoline_kernelINS0_14default_configENS1_25transform_config_selectorImLb1EEEZNS1_14transform_implILb1ES3_S5_PmPlNS0_8identityIvEEEE10hipError_tT2_T3_mT4_P12ihipStream_tbEUlT_E_NS1_11comp_targetILNS1_3genE10ELNS1_11target_archE1201ELNS1_3gpuE5ELNS1_3repE0EEENS1_30default_config_static_selectorELNS0_4arch9wavefront6targetE1EEEvT1_,@function
_ZN7rocprim17ROCPRIM_400000_NS6detail17trampoline_kernelINS0_14default_configENS1_25transform_config_selectorImLb1EEEZNS1_14transform_implILb1ES3_S5_PmPlNS0_8identityIvEEEE10hipError_tT2_T3_mT4_P12ihipStream_tbEUlT_E_NS1_11comp_targetILNS1_3genE10ELNS1_11target_archE1201ELNS1_3gpuE5ELNS1_3repE0EEENS1_30default_config_static_selectorELNS0_4arch9wavefront6targetE1EEEvT1_: ; @_ZN7rocprim17ROCPRIM_400000_NS6detail17trampoline_kernelINS0_14default_configENS1_25transform_config_selectorImLb1EEEZNS1_14transform_implILb1ES3_S5_PmPlNS0_8identityIvEEEE10hipError_tT2_T3_mT4_P12ihipStream_tbEUlT_E_NS1_11comp_targetILNS1_3genE10ELNS1_11target_archE1201ELNS1_3gpuE5ELNS1_3repE0EEENS1_30default_config_static_selectorELNS0_4arch9wavefront6targetE1EEEvT1_
; %bb.0:
	.section	.rodata,"a",@progbits
	.p2align	6, 0x0
	.amdhsa_kernel _ZN7rocprim17ROCPRIM_400000_NS6detail17trampoline_kernelINS0_14default_configENS1_25transform_config_selectorImLb1EEEZNS1_14transform_implILb1ES3_S5_PmPlNS0_8identityIvEEEE10hipError_tT2_T3_mT4_P12ihipStream_tbEUlT_E_NS1_11comp_targetILNS1_3genE10ELNS1_11target_archE1201ELNS1_3gpuE5ELNS1_3repE0EEENS1_30default_config_static_selectorELNS0_4arch9wavefront6targetE1EEEvT1_
		.amdhsa_group_segment_fixed_size 0
		.amdhsa_private_segment_fixed_size 0
		.amdhsa_kernarg_size 40
		.amdhsa_user_sgpr_count 6
		.amdhsa_user_sgpr_private_segment_buffer 1
		.amdhsa_user_sgpr_dispatch_ptr 0
		.amdhsa_user_sgpr_queue_ptr 0
		.amdhsa_user_sgpr_kernarg_segment_ptr 1
		.amdhsa_user_sgpr_dispatch_id 0
		.amdhsa_user_sgpr_flat_scratch_init 0
		.amdhsa_user_sgpr_kernarg_preload_length 0
		.amdhsa_user_sgpr_kernarg_preload_offset 0
		.amdhsa_user_sgpr_private_segment_size 0
		.amdhsa_uses_dynamic_stack 0
		.amdhsa_system_sgpr_private_segment_wavefront_offset 0
		.amdhsa_system_sgpr_workgroup_id_x 1
		.amdhsa_system_sgpr_workgroup_id_y 0
		.amdhsa_system_sgpr_workgroup_id_z 0
		.amdhsa_system_sgpr_workgroup_info 0
		.amdhsa_system_vgpr_workitem_id 0
		.amdhsa_next_free_vgpr 1
		.amdhsa_next_free_sgpr 0
		.amdhsa_accum_offset 4
		.amdhsa_reserve_vcc 0
		.amdhsa_reserve_flat_scratch 0
		.amdhsa_float_round_mode_32 0
		.amdhsa_float_round_mode_16_64 0
		.amdhsa_float_denorm_mode_32 3
		.amdhsa_float_denorm_mode_16_64 3
		.amdhsa_dx10_clamp 1
		.amdhsa_ieee_mode 1
		.amdhsa_fp16_overflow 0
		.amdhsa_tg_split 0
		.amdhsa_exception_fp_ieee_invalid_op 0
		.amdhsa_exception_fp_denorm_src 0
		.amdhsa_exception_fp_ieee_div_zero 0
		.amdhsa_exception_fp_ieee_overflow 0
		.amdhsa_exception_fp_ieee_underflow 0
		.amdhsa_exception_fp_ieee_inexact 0
		.amdhsa_exception_int_div_zero 0
	.end_amdhsa_kernel
	.section	.text._ZN7rocprim17ROCPRIM_400000_NS6detail17trampoline_kernelINS0_14default_configENS1_25transform_config_selectorImLb1EEEZNS1_14transform_implILb1ES3_S5_PmPlNS0_8identityIvEEEE10hipError_tT2_T3_mT4_P12ihipStream_tbEUlT_E_NS1_11comp_targetILNS1_3genE10ELNS1_11target_archE1201ELNS1_3gpuE5ELNS1_3repE0EEENS1_30default_config_static_selectorELNS0_4arch9wavefront6targetE1EEEvT1_,"axG",@progbits,_ZN7rocprim17ROCPRIM_400000_NS6detail17trampoline_kernelINS0_14default_configENS1_25transform_config_selectorImLb1EEEZNS1_14transform_implILb1ES3_S5_PmPlNS0_8identityIvEEEE10hipError_tT2_T3_mT4_P12ihipStream_tbEUlT_E_NS1_11comp_targetILNS1_3genE10ELNS1_11target_archE1201ELNS1_3gpuE5ELNS1_3repE0EEENS1_30default_config_static_selectorELNS0_4arch9wavefront6targetE1EEEvT1_,comdat
.Lfunc_end10:
	.size	_ZN7rocprim17ROCPRIM_400000_NS6detail17trampoline_kernelINS0_14default_configENS1_25transform_config_selectorImLb1EEEZNS1_14transform_implILb1ES3_S5_PmPlNS0_8identityIvEEEE10hipError_tT2_T3_mT4_P12ihipStream_tbEUlT_E_NS1_11comp_targetILNS1_3genE10ELNS1_11target_archE1201ELNS1_3gpuE5ELNS1_3repE0EEENS1_30default_config_static_selectorELNS0_4arch9wavefront6targetE1EEEvT1_, .Lfunc_end10-_ZN7rocprim17ROCPRIM_400000_NS6detail17trampoline_kernelINS0_14default_configENS1_25transform_config_selectorImLb1EEEZNS1_14transform_implILb1ES3_S5_PmPlNS0_8identityIvEEEE10hipError_tT2_T3_mT4_P12ihipStream_tbEUlT_E_NS1_11comp_targetILNS1_3genE10ELNS1_11target_archE1201ELNS1_3gpuE5ELNS1_3repE0EEENS1_30default_config_static_selectorELNS0_4arch9wavefront6targetE1EEEvT1_
                                        ; -- End function
	.section	.AMDGPU.csdata,"",@progbits
; Kernel info:
; codeLenInByte = 0
; NumSgprs: 4
; NumVgprs: 0
; NumAgprs: 0
; TotalNumVgprs: 0
; ScratchSize: 0
; MemoryBound: 0
; FloatMode: 240
; IeeeMode: 1
; LDSByteSize: 0 bytes/workgroup (compile time only)
; SGPRBlocks: 0
; VGPRBlocks: 0
; NumSGPRsForWavesPerEU: 4
; NumVGPRsForWavesPerEU: 1
; AccumOffset: 4
; Occupancy: 8
; WaveLimiterHint : 0
; COMPUTE_PGM_RSRC2:SCRATCH_EN: 0
; COMPUTE_PGM_RSRC2:USER_SGPR: 6
; COMPUTE_PGM_RSRC2:TRAP_HANDLER: 0
; COMPUTE_PGM_RSRC2:TGID_X_EN: 1
; COMPUTE_PGM_RSRC2:TGID_Y_EN: 0
; COMPUTE_PGM_RSRC2:TGID_Z_EN: 0
; COMPUTE_PGM_RSRC2:TIDIG_COMP_CNT: 0
; COMPUTE_PGM_RSRC3_GFX90A:ACCUM_OFFSET: 0
; COMPUTE_PGM_RSRC3_GFX90A:TG_SPLIT: 0
	.section	.text._ZN7rocprim17ROCPRIM_400000_NS6detail17trampoline_kernelINS0_14default_configENS1_25transform_config_selectorImLb1EEEZNS1_14transform_implILb1ES3_S5_PmPlNS0_8identityIvEEEE10hipError_tT2_T3_mT4_P12ihipStream_tbEUlT_E_NS1_11comp_targetILNS1_3genE5ELNS1_11target_archE942ELNS1_3gpuE9ELNS1_3repE0EEENS1_30default_config_static_selectorELNS0_4arch9wavefront6targetE1EEEvT1_,"axG",@progbits,_ZN7rocprim17ROCPRIM_400000_NS6detail17trampoline_kernelINS0_14default_configENS1_25transform_config_selectorImLb1EEEZNS1_14transform_implILb1ES3_S5_PmPlNS0_8identityIvEEEE10hipError_tT2_T3_mT4_P12ihipStream_tbEUlT_E_NS1_11comp_targetILNS1_3genE5ELNS1_11target_archE942ELNS1_3gpuE9ELNS1_3repE0EEENS1_30default_config_static_selectorELNS0_4arch9wavefront6targetE1EEEvT1_,comdat
	.protected	_ZN7rocprim17ROCPRIM_400000_NS6detail17trampoline_kernelINS0_14default_configENS1_25transform_config_selectorImLb1EEEZNS1_14transform_implILb1ES3_S5_PmPlNS0_8identityIvEEEE10hipError_tT2_T3_mT4_P12ihipStream_tbEUlT_E_NS1_11comp_targetILNS1_3genE5ELNS1_11target_archE942ELNS1_3gpuE9ELNS1_3repE0EEENS1_30default_config_static_selectorELNS0_4arch9wavefront6targetE1EEEvT1_ ; -- Begin function _ZN7rocprim17ROCPRIM_400000_NS6detail17trampoline_kernelINS0_14default_configENS1_25transform_config_selectorImLb1EEEZNS1_14transform_implILb1ES3_S5_PmPlNS0_8identityIvEEEE10hipError_tT2_T3_mT4_P12ihipStream_tbEUlT_E_NS1_11comp_targetILNS1_3genE5ELNS1_11target_archE942ELNS1_3gpuE9ELNS1_3repE0EEENS1_30default_config_static_selectorELNS0_4arch9wavefront6targetE1EEEvT1_
	.globl	_ZN7rocprim17ROCPRIM_400000_NS6detail17trampoline_kernelINS0_14default_configENS1_25transform_config_selectorImLb1EEEZNS1_14transform_implILb1ES3_S5_PmPlNS0_8identityIvEEEE10hipError_tT2_T3_mT4_P12ihipStream_tbEUlT_E_NS1_11comp_targetILNS1_3genE5ELNS1_11target_archE942ELNS1_3gpuE9ELNS1_3repE0EEENS1_30default_config_static_selectorELNS0_4arch9wavefront6targetE1EEEvT1_
	.p2align	8
	.type	_ZN7rocprim17ROCPRIM_400000_NS6detail17trampoline_kernelINS0_14default_configENS1_25transform_config_selectorImLb1EEEZNS1_14transform_implILb1ES3_S5_PmPlNS0_8identityIvEEEE10hipError_tT2_T3_mT4_P12ihipStream_tbEUlT_E_NS1_11comp_targetILNS1_3genE5ELNS1_11target_archE942ELNS1_3gpuE9ELNS1_3repE0EEENS1_30default_config_static_selectorELNS0_4arch9wavefront6targetE1EEEvT1_,@function
_ZN7rocprim17ROCPRIM_400000_NS6detail17trampoline_kernelINS0_14default_configENS1_25transform_config_selectorImLb1EEEZNS1_14transform_implILb1ES3_S5_PmPlNS0_8identityIvEEEE10hipError_tT2_T3_mT4_P12ihipStream_tbEUlT_E_NS1_11comp_targetILNS1_3genE5ELNS1_11target_archE942ELNS1_3gpuE9ELNS1_3repE0EEENS1_30default_config_static_selectorELNS0_4arch9wavefront6targetE1EEEvT1_: ; @_ZN7rocprim17ROCPRIM_400000_NS6detail17trampoline_kernelINS0_14default_configENS1_25transform_config_selectorImLb1EEEZNS1_14transform_implILb1ES3_S5_PmPlNS0_8identityIvEEEE10hipError_tT2_T3_mT4_P12ihipStream_tbEUlT_E_NS1_11comp_targetILNS1_3genE5ELNS1_11target_archE942ELNS1_3gpuE9ELNS1_3repE0EEENS1_30default_config_static_selectorELNS0_4arch9wavefront6targetE1EEEvT1_
; %bb.0:
	.section	.rodata,"a",@progbits
	.p2align	6, 0x0
	.amdhsa_kernel _ZN7rocprim17ROCPRIM_400000_NS6detail17trampoline_kernelINS0_14default_configENS1_25transform_config_selectorImLb1EEEZNS1_14transform_implILb1ES3_S5_PmPlNS0_8identityIvEEEE10hipError_tT2_T3_mT4_P12ihipStream_tbEUlT_E_NS1_11comp_targetILNS1_3genE5ELNS1_11target_archE942ELNS1_3gpuE9ELNS1_3repE0EEENS1_30default_config_static_selectorELNS0_4arch9wavefront6targetE1EEEvT1_
		.amdhsa_group_segment_fixed_size 0
		.amdhsa_private_segment_fixed_size 0
		.amdhsa_kernarg_size 40
		.amdhsa_user_sgpr_count 6
		.amdhsa_user_sgpr_private_segment_buffer 1
		.amdhsa_user_sgpr_dispatch_ptr 0
		.amdhsa_user_sgpr_queue_ptr 0
		.amdhsa_user_sgpr_kernarg_segment_ptr 1
		.amdhsa_user_sgpr_dispatch_id 0
		.amdhsa_user_sgpr_flat_scratch_init 0
		.amdhsa_user_sgpr_kernarg_preload_length 0
		.amdhsa_user_sgpr_kernarg_preload_offset 0
		.amdhsa_user_sgpr_private_segment_size 0
		.amdhsa_uses_dynamic_stack 0
		.amdhsa_system_sgpr_private_segment_wavefront_offset 0
		.amdhsa_system_sgpr_workgroup_id_x 1
		.amdhsa_system_sgpr_workgroup_id_y 0
		.amdhsa_system_sgpr_workgroup_id_z 0
		.amdhsa_system_sgpr_workgroup_info 0
		.amdhsa_system_vgpr_workitem_id 0
		.amdhsa_next_free_vgpr 1
		.amdhsa_next_free_sgpr 0
		.amdhsa_accum_offset 4
		.amdhsa_reserve_vcc 0
		.amdhsa_reserve_flat_scratch 0
		.amdhsa_float_round_mode_32 0
		.amdhsa_float_round_mode_16_64 0
		.amdhsa_float_denorm_mode_32 3
		.amdhsa_float_denorm_mode_16_64 3
		.amdhsa_dx10_clamp 1
		.amdhsa_ieee_mode 1
		.amdhsa_fp16_overflow 0
		.amdhsa_tg_split 0
		.amdhsa_exception_fp_ieee_invalid_op 0
		.amdhsa_exception_fp_denorm_src 0
		.amdhsa_exception_fp_ieee_div_zero 0
		.amdhsa_exception_fp_ieee_overflow 0
		.amdhsa_exception_fp_ieee_underflow 0
		.amdhsa_exception_fp_ieee_inexact 0
		.amdhsa_exception_int_div_zero 0
	.end_amdhsa_kernel
	.section	.text._ZN7rocprim17ROCPRIM_400000_NS6detail17trampoline_kernelINS0_14default_configENS1_25transform_config_selectorImLb1EEEZNS1_14transform_implILb1ES3_S5_PmPlNS0_8identityIvEEEE10hipError_tT2_T3_mT4_P12ihipStream_tbEUlT_E_NS1_11comp_targetILNS1_3genE5ELNS1_11target_archE942ELNS1_3gpuE9ELNS1_3repE0EEENS1_30default_config_static_selectorELNS0_4arch9wavefront6targetE1EEEvT1_,"axG",@progbits,_ZN7rocprim17ROCPRIM_400000_NS6detail17trampoline_kernelINS0_14default_configENS1_25transform_config_selectorImLb1EEEZNS1_14transform_implILb1ES3_S5_PmPlNS0_8identityIvEEEE10hipError_tT2_T3_mT4_P12ihipStream_tbEUlT_E_NS1_11comp_targetILNS1_3genE5ELNS1_11target_archE942ELNS1_3gpuE9ELNS1_3repE0EEENS1_30default_config_static_selectorELNS0_4arch9wavefront6targetE1EEEvT1_,comdat
.Lfunc_end11:
	.size	_ZN7rocprim17ROCPRIM_400000_NS6detail17trampoline_kernelINS0_14default_configENS1_25transform_config_selectorImLb1EEEZNS1_14transform_implILb1ES3_S5_PmPlNS0_8identityIvEEEE10hipError_tT2_T3_mT4_P12ihipStream_tbEUlT_E_NS1_11comp_targetILNS1_3genE5ELNS1_11target_archE942ELNS1_3gpuE9ELNS1_3repE0EEENS1_30default_config_static_selectorELNS0_4arch9wavefront6targetE1EEEvT1_, .Lfunc_end11-_ZN7rocprim17ROCPRIM_400000_NS6detail17trampoline_kernelINS0_14default_configENS1_25transform_config_selectorImLb1EEEZNS1_14transform_implILb1ES3_S5_PmPlNS0_8identityIvEEEE10hipError_tT2_T3_mT4_P12ihipStream_tbEUlT_E_NS1_11comp_targetILNS1_3genE5ELNS1_11target_archE942ELNS1_3gpuE9ELNS1_3repE0EEENS1_30default_config_static_selectorELNS0_4arch9wavefront6targetE1EEEvT1_
                                        ; -- End function
	.section	.AMDGPU.csdata,"",@progbits
; Kernel info:
; codeLenInByte = 0
; NumSgprs: 4
; NumVgprs: 0
; NumAgprs: 0
; TotalNumVgprs: 0
; ScratchSize: 0
; MemoryBound: 0
; FloatMode: 240
; IeeeMode: 1
; LDSByteSize: 0 bytes/workgroup (compile time only)
; SGPRBlocks: 0
; VGPRBlocks: 0
; NumSGPRsForWavesPerEU: 4
; NumVGPRsForWavesPerEU: 1
; AccumOffset: 4
; Occupancy: 8
; WaveLimiterHint : 0
; COMPUTE_PGM_RSRC2:SCRATCH_EN: 0
; COMPUTE_PGM_RSRC2:USER_SGPR: 6
; COMPUTE_PGM_RSRC2:TRAP_HANDLER: 0
; COMPUTE_PGM_RSRC2:TGID_X_EN: 1
; COMPUTE_PGM_RSRC2:TGID_Y_EN: 0
; COMPUTE_PGM_RSRC2:TGID_Z_EN: 0
; COMPUTE_PGM_RSRC2:TIDIG_COMP_CNT: 0
; COMPUTE_PGM_RSRC3_GFX90A:ACCUM_OFFSET: 0
; COMPUTE_PGM_RSRC3_GFX90A:TG_SPLIT: 0
	.section	.text._ZN7rocprim17ROCPRIM_400000_NS6detail17trampoline_kernelINS0_14default_configENS1_25transform_config_selectorImLb1EEEZNS1_14transform_implILb1ES3_S5_PmPlNS0_8identityIvEEEE10hipError_tT2_T3_mT4_P12ihipStream_tbEUlT_E_NS1_11comp_targetILNS1_3genE4ELNS1_11target_archE910ELNS1_3gpuE8ELNS1_3repE0EEENS1_30default_config_static_selectorELNS0_4arch9wavefront6targetE1EEEvT1_,"axG",@progbits,_ZN7rocprim17ROCPRIM_400000_NS6detail17trampoline_kernelINS0_14default_configENS1_25transform_config_selectorImLb1EEEZNS1_14transform_implILb1ES3_S5_PmPlNS0_8identityIvEEEE10hipError_tT2_T3_mT4_P12ihipStream_tbEUlT_E_NS1_11comp_targetILNS1_3genE4ELNS1_11target_archE910ELNS1_3gpuE8ELNS1_3repE0EEENS1_30default_config_static_selectorELNS0_4arch9wavefront6targetE1EEEvT1_,comdat
	.protected	_ZN7rocprim17ROCPRIM_400000_NS6detail17trampoline_kernelINS0_14default_configENS1_25transform_config_selectorImLb1EEEZNS1_14transform_implILb1ES3_S5_PmPlNS0_8identityIvEEEE10hipError_tT2_T3_mT4_P12ihipStream_tbEUlT_E_NS1_11comp_targetILNS1_3genE4ELNS1_11target_archE910ELNS1_3gpuE8ELNS1_3repE0EEENS1_30default_config_static_selectorELNS0_4arch9wavefront6targetE1EEEvT1_ ; -- Begin function _ZN7rocprim17ROCPRIM_400000_NS6detail17trampoline_kernelINS0_14default_configENS1_25transform_config_selectorImLb1EEEZNS1_14transform_implILb1ES3_S5_PmPlNS0_8identityIvEEEE10hipError_tT2_T3_mT4_P12ihipStream_tbEUlT_E_NS1_11comp_targetILNS1_3genE4ELNS1_11target_archE910ELNS1_3gpuE8ELNS1_3repE0EEENS1_30default_config_static_selectorELNS0_4arch9wavefront6targetE1EEEvT1_
	.globl	_ZN7rocprim17ROCPRIM_400000_NS6detail17trampoline_kernelINS0_14default_configENS1_25transform_config_selectorImLb1EEEZNS1_14transform_implILb1ES3_S5_PmPlNS0_8identityIvEEEE10hipError_tT2_T3_mT4_P12ihipStream_tbEUlT_E_NS1_11comp_targetILNS1_3genE4ELNS1_11target_archE910ELNS1_3gpuE8ELNS1_3repE0EEENS1_30default_config_static_selectorELNS0_4arch9wavefront6targetE1EEEvT1_
	.p2align	8
	.type	_ZN7rocprim17ROCPRIM_400000_NS6detail17trampoline_kernelINS0_14default_configENS1_25transform_config_selectorImLb1EEEZNS1_14transform_implILb1ES3_S5_PmPlNS0_8identityIvEEEE10hipError_tT2_T3_mT4_P12ihipStream_tbEUlT_E_NS1_11comp_targetILNS1_3genE4ELNS1_11target_archE910ELNS1_3gpuE8ELNS1_3repE0EEENS1_30default_config_static_selectorELNS0_4arch9wavefront6targetE1EEEvT1_,@function
_ZN7rocprim17ROCPRIM_400000_NS6detail17trampoline_kernelINS0_14default_configENS1_25transform_config_selectorImLb1EEEZNS1_14transform_implILb1ES3_S5_PmPlNS0_8identityIvEEEE10hipError_tT2_T3_mT4_P12ihipStream_tbEUlT_E_NS1_11comp_targetILNS1_3genE4ELNS1_11target_archE910ELNS1_3gpuE8ELNS1_3repE0EEENS1_30default_config_static_selectorELNS0_4arch9wavefront6targetE1EEEvT1_: ; @_ZN7rocprim17ROCPRIM_400000_NS6detail17trampoline_kernelINS0_14default_configENS1_25transform_config_selectorImLb1EEEZNS1_14transform_implILb1ES3_S5_PmPlNS0_8identityIvEEEE10hipError_tT2_T3_mT4_P12ihipStream_tbEUlT_E_NS1_11comp_targetILNS1_3genE4ELNS1_11target_archE910ELNS1_3gpuE8ELNS1_3repE0EEENS1_30default_config_static_selectorELNS0_4arch9wavefront6targetE1EEEvT1_
; %bb.0:
	s_load_dwordx8 s[8:15], s[4:5], 0x0
	s_load_dword s2, s[4:5], 0x28
	s_waitcnt lgkmcnt(0)
	s_lshl_b64 s[0:1], s[10:11], 3
	s_add_u32 s4, s8, s0
	s_addc_u32 s5, s9, s1
	s_add_u32 s8, s14, s0
	s_addc_u32 s9, s15, s1
	s_lshl_b32 s0, s6, 11
	s_mov_b32 s1, 0
	s_add_i32 s7, s2, -1
	s_lshl_b64 s[2:3], s[0:1], 3
	s_add_u32 s4, s4, s2
	s_addc_u32 s5, s5, s3
	s_cmp_lg_u32 s6, s7
	s_mov_b64 s[6:7], -1
	s_cbranch_scc0 .LBB12_2
; %bb.1:
	v_lshlrev_b32_e32 v1, 4, v0
	global_load_dwordx4 v[2:5], v1, s[4:5]
	s_add_u32 s6, s8, s2
	s_addc_u32 s7, s9, s3
	s_waitcnt vmcnt(0)
	global_store_dwordx4 v1, v[2:5], s[6:7]
	s_mov_b64 s[6:7], 0
.LBB12_2:
	s_andn2_b64 vcc, exec, s[6:7]
	s_cbranch_vccnz .LBB12_11
; %bb.3:
	s_sub_i32 s6, s12, s0
	v_cmp_gt_u32_e32 vcc, s6, v0
	v_lshlrev_b32_e32 v1, 3, v0
                                        ; implicit-def: $vgpr2_vgpr3_vgpr4_vgpr5
	s_and_saveexec_b64 s[0:1], vcc
	s_cbranch_execz .LBB12_5
; %bb.4:
	global_load_dwordx2 v[2:3], v1, s[4:5]
.LBB12_5:
	s_or_b64 exec, exec, s[0:1]
	v_or_b32_e32 v0, 0x400, v0
	v_cmp_gt_u32_e64 s[0:1], s6, v0
	s_and_saveexec_b64 s[6:7], s[0:1]
	s_cbranch_execz .LBB12_7
; %bb.6:
	v_lshlrev_b32_e32 v0, 3, v0
	global_load_dwordx2 v[4:5], v0, s[4:5]
.LBB12_7:
	s_or_b64 exec, exec, s[6:7]
	s_add_u32 s2, s8, s2
	s_addc_u32 s3, s9, s3
	v_mov_b32_e32 v6, s3
	v_add_co_u32_e64 v0, s[2:3], s2, v1
	v_addc_co_u32_e64 v1, s[2:3], 0, v6, s[2:3]
	s_and_saveexec_b64 s[2:3], vcc
	s_cbranch_execz .LBB12_9
; %bb.8:
	s_waitcnt vmcnt(0)
	global_store_dwordx2 v[0:1], v[2:3], off
.LBB12_9:
	s_or_b64 exec, exec, s[2:3]
	s_and_saveexec_b64 s[2:3], s[0:1]
	s_cbranch_execz .LBB12_11
; %bb.10:
	v_add_co_u32_e32 v0, vcc, 0x2000, v0
	v_addc_co_u32_e32 v1, vcc, 0, v1, vcc
	s_waitcnt vmcnt(0)
	global_store_dwordx2 v[0:1], v[4:5], off
.LBB12_11:
	s_endpgm
	.section	.rodata,"a",@progbits
	.p2align	6, 0x0
	.amdhsa_kernel _ZN7rocprim17ROCPRIM_400000_NS6detail17trampoline_kernelINS0_14default_configENS1_25transform_config_selectorImLb1EEEZNS1_14transform_implILb1ES3_S5_PmPlNS0_8identityIvEEEE10hipError_tT2_T3_mT4_P12ihipStream_tbEUlT_E_NS1_11comp_targetILNS1_3genE4ELNS1_11target_archE910ELNS1_3gpuE8ELNS1_3repE0EEENS1_30default_config_static_selectorELNS0_4arch9wavefront6targetE1EEEvT1_
		.amdhsa_group_segment_fixed_size 0
		.amdhsa_private_segment_fixed_size 0
		.amdhsa_kernarg_size 296
		.amdhsa_user_sgpr_count 6
		.amdhsa_user_sgpr_private_segment_buffer 1
		.amdhsa_user_sgpr_dispatch_ptr 0
		.amdhsa_user_sgpr_queue_ptr 0
		.amdhsa_user_sgpr_kernarg_segment_ptr 1
		.amdhsa_user_sgpr_dispatch_id 0
		.amdhsa_user_sgpr_flat_scratch_init 0
		.amdhsa_user_sgpr_kernarg_preload_length 0
		.amdhsa_user_sgpr_kernarg_preload_offset 0
		.amdhsa_user_sgpr_private_segment_size 0
		.amdhsa_uses_dynamic_stack 0
		.amdhsa_system_sgpr_private_segment_wavefront_offset 0
		.amdhsa_system_sgpr_workgroup_id_x 1
		.amdhsa_system_sgpr_workgroup_id_y 0
		.amdhsa_system_sgpr_workgroup_id_z 0
		.amdhsa_system_sgpr_workgroup_info 0
		.amdhsa_system_vgpr_workitem_id 0
		.amdhsa_next_free_vgpr 7
		.amdhsa_next_free_sgpr 16
		.amdhsa_accum_offset 8
		.amdhsa_reserve_vcc 1
		.amdhsa_reserve_flat_scratch 0
		.amdhsa_float_round_mode_32 0
		.amdhsa_float_round_mode_16_64 0
		.amdhsa_float_denorm_mode_32 3
		.amdhsa_float_denorm_mode_16_64 3
		.amdhsa_dx10_clamp 1
		.amdhsa_ieee_mode 1
		.amdhsa_fp16_overflow 0
		.amdhsa_tg_split 0
		.amdhsa_exception_fp_ieee_invalid_op 0
		.amdhsa_exception_fp_denorm_src 0
		.amdhsa_exception_fp_ieee_div_zero 0
		.amdhsa_exception_fp_ieee_overflow 0
		.amdhsa_exception_fp_ieee_underflow 0
		.amdhsa_exception_fp_ieee_inexact 0
		.amdhsa_exception_int_div_zero 0
	.end_amdhsa_kernel
	.section	.text._ZN7rocprim17ROCPRIM_400000_NS6detail17trampoline_kernelINS0_14default_configENS1_25transform_config_selectorImLb1EEEZNS1_14transform_implILb1ES3_S5_PmPlNS0_8identityIvEEEE10hipError_tT2_T3_mT4_P12ihipStream_tbEUlT_E_NS1_11comp_targetILNS1_3genE4ELNS1_11target_archE910ELNS1_3gpuE8ELNS1_3repE0EEENS1_30default_config_static_selectorELNS0_4arch9wavefront6targetE1EEEvT1_,"axG",@progbits,_ZN7rocprim17ROCPRIM_400000_NS6detail17trampoline_kernelINS0_14default_configENS1_25transform_config_selectorImLb1EEEZNS1_14transform_implILb1ES3_S5_PmPlNS0_8identityIvEEEE10hipError_tT2_T3_mT4_P12ihipStream_tbEUlT_E_NS1_11comp_targetILNS1_3genE4ELNS1_11target_archE910ELNS1_3gpuE8ELNS1_3repE0EEENS1_30default_config_static_selectorELNS0_4arch9wavefront6targetE1EEEvT1_,comdat
.Lfunc_end12:
	.size	_ZN7rocprim17ROCPRIM_400000_NS6detail17trampoline_kernelINS0_14default_configENS1_25transform_config_selectorImLb1EEEZNS1_14transform_implILb1ES3_S5_PmPlNS0_8identityIvEEEE10hipError_tT2_T3_mT4_P12ihipStream_tbEUlT_E_NS1_11comp_targetILNS1_3genE4ELNS1_11target_archE910ELNS1_3gpuE8ELNS1_3repE0EEENS1_30default_config_static_selectorELNS0_4arch9wavefront6targetE1EEEvT1_, .Lfunc_end12-_ZN7rocprim17ROCPRIM_400000_NS6detail17trampoline_kernelINS0_14default_configENS1_25transform_config_selectorImLb1EEEZNS1_14transform_implILb1ES3_S5_PmPlNS0_8identityIvEEEE10hipError_tT2_T3_mT4_P12ihipStream_tbEUlT_E_NS1_11comp_targetILNS1_3genE4ELNS1_11target_archE910ELNS1_3gpuE8ELNS1_3repE0EEENS1_30default_config_static_selectorELNS0_4arch9wavefront6targetE1EEEvT1_
                                        ; -- End function
	.section	.AMDGPU.csdata,"",@progbits
; Kernel info:
; codeLenInByte = 280
; NumSgprs: 20
; NumVgprs: 7
; NumAgprs: 0
; TotalNumVgprs: 7
; ScratchSize: 0
; MemoryBound: 1
; FloatMode: 240
; IeeeMode: 1
; LDSByteSize: 0 bytes/workgroup (compile time only)
; SGPRBlocks: 2
; VGPRBlocks: 0
; NumSGPRsForWavesPerEU: 20
; NumVGPRsForWavesPerEU: 7
; AccumOffset: 8
; Occupancy: 8
; WaveLimiterHint : 0
; COMPUTE_PGM_RSRC2:SCRATCH_EN: 0
; COMPUTE_PGM_RSRC2:USER_SGPR: 6
; COMPUTE_PGM_RSRC2:TRAP_HANDLER: 0
; COMPUTE_PGM_RSRC2:TGID_X_EN: 1
; COMPUTE_PGM_RSRC2:TGID_Y_EN: 0
; COMPUTE_PGM_RSRC2:TGID_Z_EN: 0
; COMPUTE_PGM_RSRC2:TIDIG_COMP_CNT: 0
; COMPUTE_PGM_RSRC3_GFX90A:ACCUM_OFFSET: 1
; COMPUTE_PGM_RSRC3_GFX90A:TG_SPLIT: 0
	.section	.text._ZN7rocprim17ROCPRIM_400000_NS6detail17trampoline_kernelINS0_14default_configENS1_25transform_config_selectorImLb1EEEZNS1_14transform_implILb1ES3_S5_PmPlNS0_8identityIvEEEE10hipError_tT2_T3_mT4_P12ihipStream_tbEUlT_E_NS1_11comp_targetILNS1_3genE3ELNS1_11target_archE908ELNS1_3gpuE7ELNS1_3repE0EEENS1_30default_config_static_selectorELNS0_4arch9wavefront6targetE1EEEvT1_,"axG",@progbits,_ZN7rocprim17ROCPRIM_400000_NS6detail17trampoline_kernelINS0_14default_configENS1_25transform_config_selectorImLb1EEEZNS1_14transform_implILb1ES3_S5_PmPlNS0_8identityIvEEEE10hipError_tT2_T3_mT4_P12ihipStream_tbEUlT_E_NS1_11comp_targetILNS1_3genE3ELNS1_11target_archE908ELNS1_3gpuE7ELNS1_3repE0EEENS1_30default_config_static_selectorELNS0_4arch9wavefront6targetE1EEEvT1_,comdat
	.protected	_ZN7rocprim17ROCPRIM_400000_NS6detail17trampoline_kernelINS0_14default_configENS1_25transform_config_selectorImLb1EEEZNS1_14transform_implILb1ES3_S5_PmPlNS0_8identityIvEEEE10hipError_tT2_T3_mT4_P12ihipStream_tbEUlT_E_NS1_11comp_targetILNS1_3genE3ELNS1_11target_archE908ELNS1_3gpuE7ELNS1_3repE0EEENS1_30default_config_static_selectorELNS0_4arch9wavefront6targetE1EEEvT1_ ; -- Begin function _ZN7rocprim17ROCPRIM_400000_NS6detail17trampoline_kernelINS0_14default_configENS1_25transform_config_selectorImLb1EEEZNS1_14transform_implILb1ES3_S5_PmPlNS0_8identityIvEEEE10hipError_tT2_T3_mT4_P12ihipStream_tbEUlT_E_NS1_11comp_targetILNS1_3genE3ELNS1_11target_archE908ELNS1_3gpuE7ELNS1_3repE0EEENS1_30default_config_static_selectorELNS0_4arch9wavefront6targetE1EEEvT1_
	.globl	_ZN7rocprim17ROCPRIM_400000_NS6detail17trampoline_kernelINS0_14default_configENS1_25transform_config_selectorImLb1EEEZNS1_14transform_implILb1ES3_S5_PmPlNS0_8identityIvEEEE10hipError_tT2_T3_mT4_P12ihipStream_tbEUlT_E_NS1_11comp_targetILNS1_3genE3ELNS1_11target_archE908ELNS1_3gpuE7ELNS1_3repE0EEENS1_30default_config_static_selectorELNS0_4arch9wavefront6targetE1EEEvT1_
	.p2align	8
	.type	_ZN7rocprim17ROCPRIM_400000_NS6detail17trampoline_kernelINS0_14default_configENS1_25transform_config_selectorImLb1EEEZNS1_14transform_implILb1ES3_S5_PmPlNS0_8identityIvEEEE10hipError_tT2_T3_mT4_P12ihipStream_tbEUlT_E_NS1_11comp_targetILNS1_3genE3ELNS1_11target_archE908ELNS1_3gpuE7ELNS1_3repE0EEENS1_30default_config_static_selectorELNS0_4arch9wavefront6targetE1EEEvT1_,@function
_ZN7rocprim17ROCPRIM_400000_NS6detail17trampoline_kernelINS0_14default_configENS1_25transform_config_selectorImLb1EEEZNS1_14transform_implILb1ES3_S5_PmPlNS0_8identityIvEEEE10hipError_tT2_T3_mT4_P12ihipStream_tbEUlT_E_NS1_11comp_targetILNS1_3genE3ELNS1_11target_archE908ELNS1_3gpuE7ELNS1_3repE0EEENS1_30default_config_static_selectorELNS0_4arch9wavefront6targetE1EEEvT1_: ; @_ZN7rocprim17ROCPRIM_400000_NS6detail17trampoline_kernelINS0_14default_configENS1_25transform_config_selectorImLb1EEEZNS1_14transform_implILb1ES3_S5_PmPlNS0_8identityIvEEEE10hipError_tT2_T3_mT4_P12ihipStream_tbEUlT_E_NS1_11comp_targetILNS1_3genE3ELNS1_11target_archE908ELNS1_3gpuE7ELNS1_3repE0EEENS1_30default_config_static_selectorELNS0_4arch9wavefront6targetE1EEEvT1_
; %bb.0:
	.section	.rodata,"a",@progbits
	.p2align	6, 0x0
	.amdhsa_kernel _ZN7rocprim17ROCPRIM_400000_NS6detail17trampoline_kernelINS0_14default_configENS1_25transform_config_selectorImLb1EEEZNS1_14transform_implILb1ES3_S5_PmPlNS0_8identityIvEEEE10hipError_tT2_T3_mT4_P12ihipStream_tbEUlT_E_NS1_11comp_targetILNS1_3genE3ELNS1_11target_archE908ELNS1_3gpuE7ELNS1_3repE0EEENS1_30default_config_static_selectorELNS0_4arch9wavefront6targetE1EEEvT1_
		.amdhsa_group_segment_fixed_size 0
		.amdhsa_private_segment_fixed_size 0
		.amdhsa_kernarg_size 40
		.amdhsa_user_sgpr_count 6
		.amdhsa_user_sgpr_private_segment_buffer 1
		.amdhsa_user_sgpr_dispatch_ptr 0
		.amdhsa_user_sgpr_queue_ptr 0
		.amdhsa_user_sgpr_kernarg_segment_ptr 1
		.amdhsa_user_sgpr_dispatch_id 0
		.amdhsa_user_sgpr_flat_scratch_init 0
		.amdhsa_user_sgpr_kernarg_preload_length 0
		.amdhsa_user_sgpr_kernarg_preload_offset 0
		.amdhsa_user_sgpr_private_segment_size 0
		.amdhsa_uses_dynamic_stack 0
		.amdhsa_system_sgpr_private_segment_wavefront_offset 0
		.amdhsa_system_sgpr_workgroup_id_x 1
		.amdhsa_system_sgpr_workgroup_id_y 0
		.amdhsa_system_sgpr_workgroup_id_z 0
		.amdhsa_system_sgpr_workgroup_info 0
		.amdhsa_system_vgpr_workitem_id 0
		.amdhsa_next_free_vgpr 1
		.amdhsa_next_free_sgpr 0
		.amdhsa_accum_offset 4
		.amdhsa_reserve_vcc 0
		.amdhsa_reserve_flat_scratch 0
		.amdhsa_float_round_mode_32 0
		.amdhsa_float_round_mode_16_64 0
		.amdhsa_float_denorm_mode_32 3
		.amdhsa_float_denorm_mode_16_64 3
		.amdhsa_dx10_clamp 1
		.amdhsa_ieee_mode 1
		.amdhsa_fp16_overflow 0
		.amdhsa_tg_split 0
		.amdhsa_exception_fp_ieee_invalid_op 0
		.amdhsa_exception_fp_denorm_src 0
		.amdhsa_exception_fp_ieee_div_zero 0
		.amdhsa_exception_fp_ieee_overflow 0
		.amdhsa_exception_fp_ieee_underflow 0
		.amdhsa_exception_fp_ieee_inexact 0
		.amdhsa_exception_int_div_zero 0
	.end_amdhsa_kernel
	.section	.text._ZN7rocprim17ROCPRIM_400000_NS6detail17trampoline_kernelINS0_14default_configENS1_25transform_config_selectorImLb1EEEZNS1_14transform_implILb1ES3_S5_PmPlNS0_8identityIvEEEE10hipError_tT2_T3_mT4_P12ihipStream_tbEUlT_E_NS1_11comp_targetILNS1_3genE3ELNS1_11target_archE908ELNS1_3gpuE7ELNS1_3repE0EEENS1_30default_config_static_selectorELNS0_4arch9wavefront6targetE1EEEvT1_,"axG",@progbits,_ZN7rocprim17ROCPRIM_400000_NS6detail17trampoline_kernelINS0_14default_configENS1_25transform_config_selectorImLb1EEEZNS1_14transform_implILb1ES3_S5_PmPlNS0_8identityIvEEEE10hipError_tT2_T3_mT4_P12ihipStream_tbEUlT_E_NS1_11comp_targetILNS1_3genE3ELNS1_11target_archE908ELNS1_3gpuE7ELNS1_3repE0EEENS1_30default_config_static_selectorELNS0_4arch9wavefront6targetE1EEEvT1_,comdat
.Lfunc_end13:
	.size	_ZN7rocprim17ROCPRIM_400000_NS6detail17trampoline_kernelINS0_14default_configENS1_25transform_config_selectorImLb1EEEZNS1_14transform_implILb1ES3_S5_PmPlNS0_8identityIvEEEE10hipError_tT2_T3_mT4_P12ihipStream_tbEUlT_E_NS1_11comp_targetILNS1_3genE3ELNS1_11target_archE908ELNS1_3gpuE7ELNS1_3repE0EEENS1_30default_config_static_selectorELNS0_4arch9wavefront6targetE1EEEvT1_, .Lfunc_end13-_ZN7rocprim17ROCPRIM_400000_NS6detail17trampoline_kernelINS0_14default_configENS1_25transform_config_selectorImLb1EEEZNS1_14transform_implILb1ES3_S5_PmPlNS0_8identityIvEEEE10hipError_tT2_T3_mT4_P12ihipStream_tbEUlT_E_NS1_11comp_targetILNS1_3genE3ELNS1_11target_archE908ELNS1_3gpuE7ELNS1_3repE0EEENS1_30default_config_static_selectorELNS0_4arch9wavefront6targetE1EEEvT1_
                                        ; -- End function
	.section	.AMDGPU.csdata,"",@progbits
; Kernel info:
; codeLenInByte = 0
; NumSgprs: 4
; NumVgprs: 0
; NumAgprs: 0
; TotalNumVgprs: 0
; ScratchSize: 0
; MemoryBound: 0
; FloatMode: 240
; IeeeMode: 1
; LDSByteSize: 0 bytes/workgroup (compile time only)
; SGPRBlocks: 0
; VGPRBlocks: 0
; NumSGPRsForWavesPerEU: 4
; NumVGPRsForWavesPerEU: 1
; AccumOffset: 4
; Occupancy: 8
; WaveLimiterHint : 0
; COMPUTE_PGM_RSRC2:SCRATCH_EN: 0
; COMPUTE_PGM_RSRC2:USER_SGPR: 6
; COMPUTE_PGM_RSRC2:TRAP_HANDLER: 0
; COMPUTE_PGM_RSRC2:TGID_X_EN: 1
; COMPUTE_PGM_RSRC2:TGID_Y_EN: 0
; COMPUTE_PGM_RSRC2:TGID_Z_EN: 0
; COMPUTE_PGM_RSRC2:TIDIG_COMP_CNT: 0
; COMPUTE_PGM_RSRC3_GFX90A:ACCUM_OFFSET: 0
; COMPUTE_PGM_RSRC3_GFX90A:TG_SPLIT: 0
	.section	.text._ZN7rocprim17ROCPRIM_400000_NS6detail17trampoline_kernelINS0_14default_configENS1_25transform_config_selectorImLb1EEEZNS1_14transform_implILb1ES3_S5_PmPlNS0_8identityIvEEEE10hipError_tT2_T3_mT4_P12ihipStream_tbEUlT_E_NS1_11comp_targetILNS1_3genE2ELNS1_11target_archE906ELNS1_3gpuE6ELNS1_3repE0EEENS1_30default_config_static_selectorELNS0_4arch9wavefront6targetE1EEEvT1_,"axG",@progbits,_ZN7rocprim17ROCPRIM_400000_NS6detail17trampoline_kernelINS0_14default_configENS1_25transform_config_selectorImLb1EEEZNS1_14transform_implILb1ES3_S5_PmPlNS0_8identityIvEEEE10hipError_tT2_T3_mT4_P12ihipStream_tbEUlT_E_NS1_11comp_targetILNS1_3genE2ELNS1_11target_archE906ELNS1_3gpuE6ELNS1_3repE0EEENS1_30default_config_static_selectorELNS0_4arch9wavefront6targetE1EEEvT1_,comdat
	.protected	_ZN7rocprim17ROCPRIM_400000_NS6detail17trampoline_kernelINS0_14default_configENS1_25transform_config_selectorImLb1EEEZNS1_14transform_implILb1ES3_S5_PmPlNS0_8identityIvEEEE10hipError_tT2_T3_mT4_P12ihipStream_tbEUlT_E_NS1_11comp_targetILNS1_3genE2ELNS1_11target_archE906ELNS1_3gpuE6ELNS1_3repE0EEENS1_30default_config_static_selectorELNS0_4arch9wavefront6targetE1EEEvT1_ ; -- Begin function _ZN7rocprim17ROCPRIM_400000_NS6detail17trampoline_kernelINS0_14default_configENS1_25transform_config_selectorImLb1EEEZNS1_14transform_implILb1ES3_S5_PmPlNS0_8identityIvEEEE10hipError_tT2_T3_mT4_P12ihipStream_tbEUlT_E_NS1_11comp_targetILNS1_3genE2ELNS1_11target_archE906ELNS1_3gpuE6ELNS1_3repE0EEENS1_30default_config_static_selectorELNS0_4arch9wavefront6targetE1EEEvT1_
	.globl	_ZN7rocprim17ROCPRIM_400000_NS6detail17trampoline_kernelINS0_14default_configENS1_25transform_config_selectorImLb1EEEZNS1_14transform_implILb1ES3_S5_PmPlNS0_8identityIvEEEE10hipError_tT2_T3_mT4_P12ihipStream_tbEUlT_E_NS1_11comp_targetILNS1_3genE2ELNS1_11target_archE906ELNS1_3gpuE6ELNS1_3repE0EEENS1_30default_config_static_selectorELNS0_4arch9wavefront6targetE1EEEvT1_
	.p2align	8
	.type	_ZN7rocprim17ROCPRIM_400000_NS6detail17trampoline_kernelINS0_14default_configENS1_25transform_config_selectorImLb1EEEZNS1_14transform_implILb1ES3_S5_PmPlNS0_8identityIvEEEE10hipError_tT2_T3_mT4_P12ihipStream_tbEUlT_E_NS1_11comp_targetILNS1_3genE2ELNS1_11target_archE906ELNS1_3gpuE6ELNS1_3repE0EEENS1_30default_config_static_selectorELNS0_4arch9wavefront6targetE1EEEvT1_,@function
_ZN7rocprim17ROCPRIM_400000_NS6detail17trampoline_kernelINS0_14default_configENS1_25transform_config_selectorImLb1EEEZNS1_14transform_implILb1ES3_S5_PmPlNS0_8identityIvEEEE10hipError_tT2_T3_mT4_P12ihipStream_tbEUlT_E_NS1_11comp_targetILNS1_3genE2ELNS1_11target_archE906ELNS1_3gpuE6ELNS1_3repE0EEENS1_30default_config_static_selectorELNS0_4arch9wavefront6targetE1EEEvT1_: ; @_ZN7rocprim17ROCPRIM_400000_NS6detail17trampoline_kernelINS0_14default_configENS1_25transform_config_selectorImLb1EEEZNS1_14transform_implILb1ES3_S5_PmPlNS0_8identityIvEEEE10hipError_tT2_T3_mT4_P12ihipStream_tbEUlT_E_NS1_11comp_targetILNS1_3genE2ELNS1_11target_archE906ELNS1_3gpuE6ELNS1_3repE0EEENS1_30default_config_static_selectorELNS0_4arch9wavefront6targetE1EEEvT1_
; %bb.0:
	.section	.rodata,"a",@progbits
	.p2align	6, 0x0
	.amdhsa_kernel _ZN7rocprim17ROCPRIM_400000_NS6detail17trampoline_kernelINS0_14default_configENS1_25transform_config_selectorImLb1EEEZNS1_14transform_implILb1ES3_S5_PmPlNS0_8identityIvEEEE10hipError_tT2_T3_mT4_P12ihipStream_tbEUlT_E_NS1_11comp_targetILNS1_3genE2ELNS1_11target_archE906ELNS1_3gpuE6ELNS1_3repE0EEENS1_30default_config_static_selectorELNS0_4arch9wavefront6targetE1EEEvT1_
		.amdhsa_group_segment_fixed_size 0
		.amdhsa_private_segment_fixed_size 0
		.amdhsa_kernarg_size 40
		.amdhsa_user_sgpr_count 6
		.amdhsa_user_sgpr_private_segment_buffer 1
		.amdhsa_user_sgpr_dispatch_ptr 0
		.amdhsa_user_sgpr_queue_ptr 0
		.amdhsa_user_sgpr_kernarg_segment_ptr 1
		.amdhsa_user_sgpr_dispatch_id 0
		.amdhsa_user_sgpr_flat_scratch_init 0
		.amdhsa_user_sgpr_kernarg_preload_length 0
		.amdhsa_user_sgpr_kernarg_preload_offset 0
		.amdhsa_user_sgpr_private_segment_size 0
		.amdhsa_uses_dynamic_stack 0
		.amdhsa_system_sgpr_private_segment_wavefront_offset 0
		.amdhsa_system_sgpr_workgroup_id_x 1
		.amdhsa_system_sgpr_workgroup_id_y 0
		.amdhsa_system_sgpr_workgroup_id_z 0
		.amdhsa_system_sgpr_workgroup_info 0
		.amdhsa_system_vgpr_workitem_id 0
		.amdhsa_next_free_vgpr 1
		.amdhsa_next_free_sgpr 0
		.amdhsa_accum_offset 4
		.amdhsa_reserve_vcc 0
		.amdhsa_reserve_flat_scratch 0
		.amdhsa_float_round_mode_32 0
		.amdhsa_float_round_mode_16_64 0
		.amdhsa_float_denorm_mode_32 3
		.amdhsa_float_denorm_mode_16_64 3
		.amdhsa_dx10_clamp 1
		.amdhsa_ieee_mode 1
		.amdhsa_fp16_overflow 0
		.amdhsa_tg_split 0
		.amdhsa_exception_fp_ieee_invalid_op 0
		.amdhsa_exception_fp_denorm_src 0
		.amdhsa_exception_fp_ieee_div_zero 0
		.amdhsa_exception_fp_ieee_overflow 0
		.amdhsa_exception_fp_ieee_underflow 0
		.amdhsa_exception_fp_ieee_inexact 0
		.amdhsa_exception_int_div_zero 0
	.end_amdhsa_kernel
	.section	.text._ZN7rocprim17ROCPRIM_400000_NS6detail17trampoline_kernelINS0_14default_configENS1_25transform_config_selectorImLb1EEEZNS1_14transform_implILb1ES3_S5_PmPlNS0_8identityIvEEEE10hipError_tT2_T3_mT4_P12ihipStream_tbEUlT_E_NS1_11comp_targetILNS1_3genE2ELNS1_11target_archE906ELNS1_3gpuE6ELNS1_3repE0EEENS1_30default_config_static_selectorELNS0_4arch9wavefront6targetE1EEEvT1_,"axG",@progbits,_ZN7rocprim17ROCPRIM_400000_NS6detail17trampoline_kernelINS0_14default_configENS1_25transform_config_selectorImLb1EEEZNS1_14transform_implILb1ES3_S5_PmPlNS0_8identityIvEEEE10hipError_tT2_T3_mT4_P12ihipStream_tbEUlT_E_NS1_11comp_targetILNS1_3genE2ELNS1_11target_archE906ELNS1_3gpuE6ELNS1_3repE0EEENS1_30default_config_static_selectorELNS0_4arch9wavefront6targetE1EEEvT1_,comdat
.Lfunc_end14:
	.size	_ZN7rocprim17ROCPRIM_400000_NS6detail17trampoline_kernelINS0_14default_configENS1_25transform_config_selectorImLb1EEEZNS1_14transform_implILb1ES3_S5_PmPlNS0_8identityIvEEEE10hipError_tT2_T3_mT4_P12ihipStream_tbEUlT_E_NS1_11comp_targetILNS1_3genE2ELNS1_11target_archE906ELNS1_3gpuE6ELNS1_3repE0EEENS1_30default_config_static_selectorELNS0_4arch9wavefront6targetE1EEEvT1_, .Lfunc_end14-_ZN7rocprim17ROCPRIM_400000_NS6detail17trampoline_kernelINS0_14default_configENS1_25transform_config_selectorImLb1EEEZNS1_14transform_implILb1ES3_S5_PmPlNS0_8identityIvEEEE10hipError_tT2_T3_mT4_P12ihipStream_tbEUlT_E_NS1_11comp_targetILNS1_3genE2ELNS1_11target_archE906ELNS1_3gpuE6ELNS1_3repE0EEENS1_30default_config_static_selectorELNS0_4arch9wavefront6targetE1EEEvT1_
                                        ; -- End function
	.section	.AMDGPU.csdata,"",@progbits
; Kernel info:
; codeLenInByte = 0
; NumSgprs: 4
; NumVgprs: 0
; NumAgprs: 0
; TotalNumVgprs: 0
; ScratchSize: 0
; MemoryBound: 0
; FloatMode: 240
; IeeeMode: 1
; LDSByteSize: 0 bytes/workgroup (compile time only)
; SGPRBlocks: 0
; VGPRBlocks: 0
; NumSGPRsForWavesPerEU: 4
; NumVGPRsForWavesPerEU: 1
; AccumOffset: 4
; Occupancy: 8
; WaveLimiterHint : 0
; COMPUTE_PGM_RSRC2:SCRATCH_EN: 0
; COMPUTE_PGM_RSRC2:USER_SGPR: 6
; COMPUTE_PGM_RSRC2:TRAP_HANDLER: 0
; COMPUTE_PGM_RSRC2:TGID_X_EN: 1
; COMPUTE_PGM_RSRC2:TGID_Y_EN: 0
; COMPUTE_PGM_RSRC2:TGID_Z_EN: 0
; COMPUTE_PGM_RSRC2:TIDIG_COMP_CNT: 0
; COMPUTE_PGM_RSRC3_GFX90A:ACCUM_OFFSET: 0
; COMPUTE_PGM_RSRC3_GFX90A:TG_SPLIT: 0
	.section	.text._ZN7rocprim17ROCPRIM_400000_NS6detail17trampoline_kernelINS0_14default_configENS1_25transform_config_selectorImLb1EEEZNS1_14transform_implILb1ES3_S5_PmPlNS0_8identityIvEEEE10hipError_tT2_T3_mT4_P12ihipStream_tbEUlT_E_NS1_11comp_targetILNS1_3genE9ELNS1_11target_archE1100ELNS1_3gpuE3ELNS1_3repE0EEENS1_30default_config_static_selectorELNS0_4arch9wavefront6targetE1EEEvT1_,"axG",@progbits,_ZN7rocprim17ROCPRIM_400000_NS6detail17trampoline_kernelINS0_14default_configENS1_25transform_config_selectorImLb1EEEZNS1_14transform_implILb1ES3_S5_PmPlNS0_8identityIvEEEE10hipError_tT2_T3_mT4_P12ihipStream_tbEUlT_E_NS1_11comp_targetILNS1_3genE9ELNS1_11target_archE1100ELNS1_3gpuE3ELNS1_3repE0EEENS1_30default_config_static_selectorELNS0_4arch9wavefront6targetE1EEEvT1_,comdat
	.protected	_ZN7rocprim17ROCPRIM_400000_NS6detail17trampoline_kernelINS0_14default_configENS1_25transform_config_selectorImLb1EEEZNS1_14transform_implILb1ES3_S5_PmPlNS0_8identityIvEEEE10hipError_tT2_T3_mT4_P12ihipStream_tbEUlT_E_NS1_11comp_targetILNS1_3genE9ELNS1_11target_archE1100ELNS1_3gpuE3ELNS1_3repE0EEENS1_30default_config_static_selectorELNS0_4arch9wavefront6targetE1EEEvT1_ ; -- Begin function _ZN7rocprim17ROCPRIM_400000_NS6detail17trampoline_kernelINS0_14default_configENS1_25transform_config_selectorImLb1EEEZNS1_14transform_implILb1ES3_S5_PmPlNS0_8identityIvEEEE10hipError_tT2_T3_mT4_P12ihipStream_tbEUlT_E_NS1_11comp_targetILNS1_3genE9ELNS1_11target_archE1100ELNS1_3gpuE3ELNS1_3repE0EEENS1_30default_config_static_selectorELNS0_4arch9wavefront6targetE1EEEvT1_
	.globl	_ZN7rocprim17ROCPRIM_400000_NS6detail17trampoline_kernelINS0_14default_configENS1_25transform_config_selectorImLb1EEEZNS1_14transform_implILb1ES3_S5_PmPlNS0_8identityIvEEEE10hipError_tT2_T3_mT4_P12ihipStream_tbEUlT_E_NS1_11comp_targetILNS1_3genE9ELNS1_11target_archE1100ELNS1_3gpuE3ELNS1_3repE0EEENS1_30default_config_static_selectorELNS0_4arch9wavefront6targetE1EEEvT1_
	.p2align	8
	.type	_ZN7rocprim17ROCPRIM_400000_NS6detail17trampoline_kernelINS0_14default_configENS1_25transform_config_selectorImLb1EEEZNS1_14transform_implILb1ES3_S5_PmPlNS0_8identityIvEEEE10hipError_tT2_T3_mT4_P12ihipStream_tbEUlT_E_NS1_11comp_targetILNS1_3genE9ELNS1_11target_archE1100ELNS1_3gpuE3ELNS1_3repE0EEENS1_30default_config_static_selectorELNS0_4arch9wavefront6targetE1EEEvT1_,@function
_ZN7rocprim17ROCPRIM_400000_NS6detail17trampoline_kernelINS0_14default_configENS1_25transform_config_selectorImLb1EEEZNS1_14transform_implILb1ES3_S5_PmPlNS0_8identityIvEEEE10hipError_tT2_T3_mT4_P12ihipStream_tbEUlT_E_NS1_11comp_targetILNS1_3genE9ELNS1_11target_archE1100ELNS1_3gpuE3ELNS1_3repE0EEENS1_30default_config_static_selectorELNS0_4arch9wavefront6targetE1EEEvT1_: ; @_ZN7rocprim17ROCPRIM_400000_NS6detail17trampoline_kernelINS0_14default_configENS1_25transform_config_selectorImLb1EEEZNS1_14transform_implILb1ES3_S5_PmPlNS0_8identityIvEEEE10hipError_tT2_T3_mT4_P12ihipStream_tbEUlT_E_NS1_11comp_targetILNS1_3genE9ELNS1_11target_archE1100ELNS1_3gpuE3ELNS1_3repE0EEENS1_30default_config_static_selectorELNS0_4arch9wavefront6targetE1EEEvT1_
; %bb.0:
	.section	.rodata,"a",@progbits
	.p2align	6, 0x0
	.amdhsa_kernel _ZN7rocprim17ROCPRIM_400000_NS6detail17trampoline_kernelINS0_14default_configENS1_25transform_config_selectorImLb1EEEZNS1_14transform_implILb1ES3_S5_PmPlNS0_8identityIvEEEE10hipError_tT2_T3_mT4_P12ihipStream_tbEUlT_E_NS1_11comp_targetILNS1_3genE9ELNS1_11target_archE1100ELNS1_3gpuE3ELNS1_3repE0EEENS1_30default_config_static_selectorELNS0_4arch9wavefront6targetE1EEEvT1_
		.amdhsa_group_segment_fixed_size 0
		.amdhsa_private_segment_fixed_size 0
		.amdhsa_kernarg_size 40
		.amdhsa_user_sgpr_count 6
		.amdhsa_user_sgpr_private_segment_buffer 1
		.amdhsa_user_sgpr_dispatch_ptr 0
		.amdhsa_user_sgpr_queue_ptr 0
		.amdhsa_user_sgpr_kernarg_segment_ptr 1
		.amdhsa_user_sgpr_dispatch_id 0
		.amdhsa_user_sgpr_flat_scratch_init 0
		.amdhsa_user_sgpr_kernarg_preload_length 0
		.amdhsa_user_sgpr_kernarg_preload_offset 0
		.amdhsa_user_sgpr_private_segment_size 0
		.amdhsa_uses_dynamic_stack 0
		.amdhsa_system_sgpr_private_segment_wavefront_offset 0
		.amdhsa_system_sgpr_workgroup_id_x 1
		.amdhsa_system_sgpr_workgroup_id_y 0
		.amdhsa_system_sgpr_workgroup_id_z 0
		.amdhsa_system_sgpr_workgroup_info 0
		.amdhsa_system_vgpr_workitem_id 0
		.amdhsa_next_free_vgpr 1
		.amdhsa_next_free_sgpr 0
		.amdhsa_accum_offset 4
		.amdhsa_reserve_vcc 0
		.amdhsa_reserve_flat_scratch 0
		.amdhsa_float_round_mode_32 0
		.amdhsa_float_round_mode_16_64 0
		.amdhsa_float_denorm_mode_32 3
		.amdhsa_float_denorm_mode_16_64 3
		.amdhsa_dx10_clamp 1
		.amdhsa_ieee_mode 1
		.amdhsa_fp16_overflow 0
		.amdhsa_tg_split 0
		.amdhsa_exception_fp_ieee_invalid_op 0
		.amdhsa_exception_fp_denorm_src 0
		.amdhsa_exception_fp_ieee_div_zero 0
		.amdhsa_exception_fp_ieee_overflow 0
		.amdhsa_exception_fp_ieee_underflow 0
		.amdhsa_exception_fp_ieee_inexact 0
		.amdhsa_exception_int_div_zero 0
	.end_amdhsa_kernel
	.section	.text._ZN7rocprim17ROCPRIM_400000_NS6detail17trampoline_kernelINS0_14default_configENS1_25transform_config_selectorImLb1EEEZNS1_14transform_implILb1ES3_S5_PmPlNS0_8identityIvEEEE10hipError_tT2_T3_mT4_P12ihipStream_tbEUlT_E_NS1_11comp_targetILNS1_3genE9ELNS1_11target_archE1100ELNS1_3gpuE3ELNS1_3repE0EEENS1_30default_config_static_selectorELNS0_4arch9wavefront6targetE1EEEvT1_,"axG",@progbits,_ZN7rocprim17ROCPRIM_400000_NS6detail17trampoline_kernelINS0_14default_configENS1_25transform_config_selectorImLb1EEEZNS1_14transform_implILb1ES3_S5_PmPlNS0_8identityIvEEEE10hipError_tT2_T3_mT4_P12ihipStream_tbEUlT_E_NS1_11comp_targetILNS1_3genE9ELNS1_11target_archE1100ELNS1_3gpuE3ELNS1_3repE0EEENS1_30default_config_static_selectorELNS0_4arch9wavefront6targetE1EEEvT1_,comdat
.Lfunc_end15:
	.size	_ZN7rocprim17ROCPRIM_400000_NS6detail17trampoline_kernelINS0_14default_configENS1_25transform_config_selectorImLb1EEEZNS1_14transform_implILb1ES3_S5_PmPlNS0_8identityIvEEEE10hipError_tT2_T3_mT4_P12ihipStream_tbEUlT_E_NS1_11comp_targetILNS1_3genE9ELNS1_11target_archE1100ELNS1_3gpuE3ELNS1_3repE0EEENS1_30default_config_static_selectorELNS0_4arch9wavefront6targetE1EEEvT1_, .Lfunc_end15-_ZN7rocprim17ROCPRIM_400000_NS6detail17trampoline_kernelINS0_14default_configENS1_25transform_config_selectorImLb1EEEZNS1_14transform_implILb1ES3_S5_PmPlNS0_8identityIvEEEE10hipError_tT2_T3_mT4_P12ihipStream_tbEUlT_E_NS1_11comp_targetILNS1_3genE9ELNS1_11target_archE1100ELNS1_3gpuE3ELNS1_3repE0EEENS1_30default_config_static_selectorELNS0_4arch9wavefront6targetE1EEEvT1_
                                        ; -- End function
	.section	.AMDGPU.csdata,"",@progbits
; Kernel info:
; codeLenInByte = 0
; NumSgprs: 4
; NumVgprs: 0
; NumAgprs: 0
; TotalNumVgprs: 0
; ScratchSize: 0
; MemoryBound: 0
; FloatMode: 240
; IeeeMode: 1
; LDSByteSize: 0 bytes/workgroup (compile time only)
; SGPRBlocks: 0
; VGPRBlocks: 0
; NumSGPRsForWavesPerEU: 4
; NumVGPRsForWavesPerEU: 1
; AccumOffset: 4
; Occupancy: 8
; WaveLimiterHint : 0
; COMPUTE_PGM_RSRC2:SCRATCH_EN: 0
; COMPUTE_PGM_RSRC2:USER_SGPR: 6
; COMPUTE_PGM_RSRC2:TRAP_HANDLER: 0
; COMPUTE_PGM_RSRC2:TGID_X_EN: 1
; COMPUTE_PGM_RSRC2:TGID_Y_EN: 0
; COMPUTE_PGM_RSRC2:TGID_Z_EN: 0
; COMPUTE_PGM_RSRC2:TIDIG_COMP_CNT: 0
; COMPUTE_PGM_RSRC3_GFX90A:ACCUM_OFFSET: 0
; COMPUTE_PGM_RSRC3_GFX90A:TG_SPLIT: 0
	.section	.text._ZN7rocprim17ROCPRIM_400000_NS6detail17trampoline_kernelINS0_14default_configENS1_25transform_config_selectorImLb1EEEZNS1_14transform_implILb1ES3_S5_PmPlNS0_8identityIvEEEE10hipError_tT2_T3_mT4_P12ihipStream_tbEUlT_E_NS1_11comp_targetILNS1_3genE8ELNS1_11target_archE1030ELNS1_3gpuE2ELNS1_3repE0EEENS1_30default_config_static_selectorELNS0_4arch9wavefront6targetE1EEEvT1_,"axG",@progbits,_ZN7rocprim17ROCPRIM_400000_NS6detail17trampoline_kernelINS0_14default_configENS1_25transform_config_selectorImLb1EEEZNS1_14transform_implILb1ES3_S5_PmPlNS0_8identityIvEEEE10hipError_tT2_T3_mT4_P12ihipStream_tbEUlT_E_NS1_11comp_targetILNS1_3genE8ELNS1_11target_archE1030ELNS1_3gpuE2ELNS1_3repE0EEENS1_30default_config_static_selectorELNS0_4arch9wavefront6targetE1EEEvT1_,comdat
	.protected	_ZN7rocprim17ROCPRIM_400000_NS6detail17trampoline_kernelINS0_14default_configENS1_25transform_config_selectorImLb1EEEZNS1_14transform_implILb1ES3_S5_PmPlNS0_8identityIvEEEE10hipError_tT2_T3_mT4_P12ihipStream_tbEUlT_E_NS1_11comp_targetILNS1_3genE8ELNS1_11target_archE1030ELNS1_3gpuE2ELNS1_3repE0EEENS1_30default_config_static_selectorELNS0_4arch9wavefront6targetE1EEEvT1_ ; -- Begin function _ZN7rocprim17ROCPRIM_400000_NS6detail17trampoline_kernelINS0_14default_configENS1_25transform_config_selectorImLb1EEEZNS1_14transform_implILb1ES3_S5_PmPlNS0_8identityIvEEEE10hipError_tT2_T3_mT4_P12ihipStream_tbEUlT_E_NS1_11comp_targetILNS1_3genE8ELNS1_11target_archE1030ELNS1_3gpuE2ELNS1_3repE0EEENS1_30default_config_static_selectorELNS0_4arch9wavefront6targetE1EEEvT1_
	.globl	_ZN7rocprim17ROCPRIM_400000_NS6detail17trampoline_kernelINS0_14default_configENS1_25transform_config_selectorImLb1EEEZNS1_14transform_implILb1ES3_S5_PmPlNS0_8identityIvEEEE10hipError_tT2_T3_mT4_P12ihipStream_tbEUlT_E_NS1_11comp_targetILNS1_3genE8ELNS1_11target_archE1030ELNS1_3gpuE2ELNS1_3repE0EEENS1_30default_config_static_selectorELNS0_4arch9wavefront6targetE1EEEvT1_
	.p2align	8
	.type	_ZN7rocprim17ROCPRIM_400000_NS6detail17trampoline_kernelINS0_14default_configENS1_25transform_config_selectorImLb1EEEZNS1_14transform_implILb1ES3_S5_PmPlNS0_8identityIvEEEE10hipError_tT2_T3_mT4_P12ihipStream_tbEUlT_E_NS1_11comp_targetILNS1_3genE8ELNS1_11target_archE1030ELNS1_3gpuE2ELNS1_3repE0EEENS1_30default_config_static_selectorELNS0_4arch9wavefront6targetE1EEEvT1_,@function
_ZN7rocprim17ROCPRIM_400000_NS6detail17trampoline_kernelINS0_14default_configENS1_25transform_config_selectorImLb1EEEZNS1_14transform_implILb1ES3_S5_PmPlNS0_8identityIvEEEE10hipError_tT2_T3_mT4_P12ihipStream_tbEUlT_E_NS1_11comp_targetILNS1_3genE8ELNS1_11target_archE1030ELNS1_3gpuE2ELNS1_3repE0EEENS1_30default_config_static_selectorELNS0_4arch9wavefront6targetE1EEEvT1_: ; @_ZN7rocprim17ROCPRIM_400000_NS6detail17trampoline_kernelINS0_14default_configENS1_25transform_config_selectorImLb1EEEZNS1_14transform_implILb1ES3_S5_PmPlNS0_8identityIvEEEE10hipError_tT2_T3_mT4_P12ihipStream_tbEUlT_E_NS1_11comp_targetILNS1_3genE8ELNS1_11target_archE1030ELNS1_3gpuE2ELNS1_3repE0EEENS1_30default_config_static_selectorELNS0_4arch9wavefront6targetE1EEEvT1_
; %bb.0:
	.section	.rodata,"a",@progbits
	.p2align	6, 0x0
	.amdhsa_kernel _ZN7rocprim17ROCPRIM_400000_NS6detail17trampoline_kernelINS0_14default_configENS1_25transform_config_selectorImLb1EEEZNS1_14transform_implILb1ES3_S5_PmPlNS0_8identityIvEEEE10hipError_tT2_T3_mT4_P12ihipStream_tbEUlT_E_NS1_11comp_targetILNS1_3genE8ELNS1_11target_archE1030ELNS1_3gpuE2ELNS1_3repE0EEENS1_30default_config_static_selectorELNS0_4arch9wavefront6targetE1EEEvT1_
		.amdhsa_group_segment_fixed_size 0
		.amdhsa_private_segment_fixed_size 0
		.amdhsa_kernarg_size 40
		.amdhsa_user_sgpr_count 6
		.amdhsa_user_sgpr_private_segment_buffer 1
		.amdhsa_user_sgpr_dispatch_ptr 0
		.amdhsa_user_sgpr_queue_ptr 0
		.amdhsa_user_sgpr_kernarg_segment_ptr 1
		.amdhsa_user_sgpr_dispatch_id 0
		.amdhsa_user_sgpr_flat_scratch_init 0
		.amdhsa_user_sgpr_kernarg_preload_length 0
		.amdhsa_user_sgpr_kernarg_preload_offset 0
		.amdhsa_user_sgpr_private_segment_size 0
		.amdhsa_uses_dynamic_stack 0
		.amdhsa_system_sgpr_private_segment_wavefront_offset 0
		.amdhsa_system_sgpr_workgroup_id_x 1
		.amdhsa_system_sgpr_workgroup_id_y 0
		.amdhsa_system_sgpr_workgroup_id_z 0
		.amdhsa_system_sgpr_workgroup_info 0
		.amdhsa_system_vgpr_workitem_id 0
		.amdhsa_next_free_vgpr 1
		.amdhsa_next_free_sgpr 0
		.amdhsa_accum_offset 4
		.amdhsa_reserve_vcc 0
		.amdhsa_reserve_flat_scratch 0
		.amdhsa_float_round_mode_32 0
		.amdhsa_float_round_mode_16_64 0
		.amdhsa_float_denorm_mode_32 3
		.amdhsa_float_denorm_mode_16_64 3
		.amdhsa_dx10_clamp 1
		.amdhsa_ieee_mode 1
		.amdhsa_fp16_overflow 0
		.amdhsa_tg_split 0
		.amdhsa_exception_fp_ieee_invalid_op 0
		.amdhsa_exception_fp_denorm_src 0
		.amdhsa_exception_fp_ieee_div_zero 0
		.amdhsa_exception_fp_ieee_overflow 0
		.amdhsa_exception_fp_ieee_underflow 0
		.amdhsa_exception_fp_ieee_inexact 0
		.amdhsa_exception_int_div_zero 0
	.end_amdhsa_kernel
	.section	.text._ZN7rocprim17ROCPRIM_400000_NS6detail17trampoline_kernelINS0_14default_configENS1_25transform_config_selectorImLb1EEEZNS1_14transform_implILb1ES3_S5_PmPlNS0_8identityIvEEEE10hipError_tT2_T3_mT4_P12ihipStream_tbEUlT_E_NS1_11comp_targetILNS1_3genE8ELNS1_11target_archE1030ELNS1_3gpuE2ELNS1_3repE0EEENS1_30default_config_static_selectorELNS0_4arch9wavefront6targetE1EEEvT1_,"axG",@progbits,_ZN7rocprim17ROCPRIM_400000_NS6detail17trampoline_kernelINS0_14default_configENS1_25transform_config_selectorImLb1EEEZNS1_14transform_implILb1ES3_S5_PmPlNS0_8identityIvEEEE10hipError_tT2_T3_mT4_P12ihipStream_tbEUlT_E_NS1_11comp_targetILNS1_3genE8ELNS1_11target_archE1030ELNS1_3gpuE2ELNS1_3repE0EEENS1_30default_config_static_selectorELNS0_4arch9wavefront6targetE1EEEvT1_,comdat
.Lfunc_end16:
	.size	_ZN7rocprim17ROCPRIM_400000_NS6detail17trampoline_kernelINS0_14default_configENS1_25transform_config_selectorImLb1EEEZNS1_14transform_implILb1ES3_S5_PmPlNS0_8identityIvEEEE10hipError_tT2_T3_mT4_P12ihipStream_tbEUlT_E_NS1_11comp_targetILNS1_3genE8ELNS1_11target_archE1030ELNS1_3gpuE2ELNS1_3repE0EEENS1_30default_config_static_selectorELNS0_4arch9wavefront6targetE1EEEvT1_, .Lfunc_end16-_ZN7rocprim17ROCPRIM_400000_NS6detail17trampoline_kernelINS0_14default_configENS1_25transform_config_selectorImLb1EEEZNS1_14transform_implILb1ES3_S5_PmPlNS0_8identityIvEEEE10hipError_tT2_T3_mT4_P12ihipStream_tbEUlT_E_NS1_11comp_targetILNS1_3genE8ELNS1_11target_archE1030ELNS1_3gpuE2ELNS1_3repE0EEENS1_30default_config_static_selectorELNS0_4arch9wavefront6targetE1EEEvT1_
                                        ; -- End function
	.section	.AMDGPU.csdata,"",@progbits
; Kernel info:
; codeLenInByte = 0
; NumSgprs: 4
; NumVgprs: 0
; NumAgprs: 0
; TotalNumVgprs: 0
; ScratchSize: 0
; MemoryBound: 0
; FloatMode: 240
; IeeeMode: 1
; LDSByteSize: 0 bytes/workgroup (compile time only)
; SGPRBlocks: 0
; VGPRBlocks: 0
; NumSGPRsForWavesPerEU: 4
; NumVGPRsForWavesPerEU: 1
; AccumOffset: 4
; Occupancy: 8
; WaveLimiterHint : 0
; COMPUTE_PGM_RSRC2:SCRATCH_EN: 0
; COMPUTE_PGM_RSRC2:USER_SGPR: 6
; COMPUTE_PGM_RSRC2:TRAP_HANDLER: 0
; COMPUTE_PGM_RSRC2:TGID_X_EN: 1
; COMPUTE_PGM_RSRC2:TGID_Y_EN: 0
; COMPUTE_PGM_RSRC2:TGID_Z_EN: 0
; COMPUTE_PGM_RSRC2:TIDIG_COMP_CNT: 0
; COMPUTE_PGM_RSRC3_GFX90A:ACCUM_OFFSET: 0
; COMPUTE_PGM_RSRC3_GFX90A:TG_SPLIT: 0
	.section	.text._ZN7rocprim17ROCPRIM_400000_NS6detail31init_lookback_scan_state_kernelINS1_19lookback_scan_stateIjLb1ELb1EEENS1_16block_id_wrapperIjLb1EEEEEvT_jT0_jPNS7_10value_typeE,"axG",@progbits,_ZN7rocprim17ROCPRIM_400000_NS6detail31init_lookback_scan_state_kernelINS1_19lookback_scan_stateIjLb1ELb1EEENS1_16block_id_wrapperIjLb1EEEEEvT_jT0_jPNS7_10value_typeE,comdat
	.protected	_ZN7rocprim17ROCPRIM_400000_NS6detail31init_lookback_scan_state_kernelINS1_19lookback_scan_stateIjLb1ELb1EEENS1_16block_id_wrapperIjLb1EEEEEvT_jT0_jPNS7_10value_typeE ; -- Begin function _ZN7rocprim17ROCPRIM_400000_NS6detail31init_lookback_scan_state_kernelINS1_19lookback_scan_stateIjLb1ELb1EEENS1_16block_id_wrapperIjLb1EEEEEvT_jT0_jPNS7_10value_typeE
	.globl	_ZN7rocprim17ROCPRIM_400000_NS6detail31init_lookback_scan_state_kernelINS1_19lookback_scan_stateIjLb1ELb1EEENS1_16block_id_wrapperIjLb1EEEEEvT_jT0_jPNS7_10value_typeE
	.p2align	8
	.type	_ZN7rocprim17ROCPRIM_400000_NS6detail31init_lookback_scan_state_kernelINS1_19lookback_scan_stateIjLb1ELb1EEENS1_16block_id_wrapperIjLb1EEEEEvT_jT0_jPNS7_10value_typeE,@function
_ZN7rocprim17ROCPRIM_400000_NS6detail31init_lookback_scan_state_kernelINS1_19lookback_scan_stateIjLb1ELb1EEENS1_16block_id_wrapperIjLb1EEEEEvT_jT0_jPNS7_10value_typeE: ; @_ZN7rocprim17ROCPRIM_400000_NS6detail31init_lookback_scan_state_kernelINS1_19lookback_scan_stateIjLb1ELb1EEENS1_16block_id_wrapperIjLb1EEEEEvT_jT0_jPNS7_10value_typeE
; %bb.0:
	s_load_dword s7, s[4:5], 0x34
	s_load_dwordx2 s[2:3], s[4:5], 0x20
	s_load_dwordx2 s[0:1], s[4:5], 0x0
	s_load_dword s10, s[4:5], 0x8
	s_waitcnt lgkmcnt(0)
	s_and_b32 s7, s7, 0xffff
	s_mul_i32 s6, s6, s7
	s_cmp_eq_u64 s[2:3], 0
	v_add_u32_e32 v0, s6, v0
	s_cbranch_scc1 .LBB17_9
; %bb.1:
	s_load_dword s8, s[4:5], 0x18
	s_mov_b32 s9, 0
	s_waitcnt lgkmcnt(0)
	s_cmp_lt_u32 s8, s10
	s_cselect_b32 s6, s8, 0
	v_cmp_eq_u32_e32 vcc, s6, v0
	s_and_saveexec_b64 s[6:7], vcc
	s_cbranch_execz .LBB17_8
; %bb.2:
	s_add_i32 s8, s8, 64
	s_lshl_b64 s[8:9], s[8:9], 3
	s_add_u32 s8, s0, s8
	s_addc_u32 s9, s1, s9
	v_mov_b32_e32 v2, 0
	global_load_dwordx2 v[4:5], v2, s[8:9] glc
	s_waitcnt vmcnt(0)
	v_and_b32_e32 v3, 0xff, v5
	v_cmp_ne_u64_e32 vcc, 0, v[2:3]
	s_cbranch_vccnz .LBB17_7
; %bb.3:
	s_mov_b32 s11, 1
.LBB17_4:                               ; =>This Loop Header: Depth=1
                                        ;     Child Loop BB17_5 Depth 2
	s_max_u32 s12, s11, 1
.LBB17_5:                               ;   Parent Loop BB17_4 Depth=1
                                        ; =>  This Inner Loop Header: Depth=2
	s_add_i32 s12, s12, -1
	s_cmp_eq_u32 s12, 0
	s_sleep 1
	s_cbranch_scc0 .LBB17_5
; %bb.6:                                ;   in Loop: Header=BB17_4 Depth=1
	global_load_dwordx2 v[4:5], v2, s[8:9] glc
	s_cmp_lt_u32 s11, 32
	s_cselect_b64 s[12:13], -1, 0
	s_cmp_lg_u64 s[12:13], 0
	s_addc_u32 s11, s11, 0
	s_waitcnt vmcnt(0)
	v_and_b32_e32 v3, 0xff, v5
	v_cmp_ne_u64_e32 vcc, 0, v[2:3]
	s_cbranch_vccz .LBB17_4
.LBB17_7:
	v_mov_b32_e32 v1, 0
	global_store_dword v1, v4, s[2:3]
.LBB17_8:
	s_or_b64 exec, exec, s[6:7]
.LBB17_9:
	v_cmp_eq_u32_e32 vcc, 0, v0
	s_and_saveexec_b64 s[2:3], vcc
	s_cbranch_execnz .LBB17_13
; %bb.10:
	s_or_b64 exec, exec, s[2:3]
	v_cmp_gt_u32_e32 vcc, s10, v0
	s_and_saveexec_b64 s[2:3], vcc
	s_cbranch_execnz .LBB17_14
.LBB17_11:
	s_or_b64 exec, exec, s[2:3]
	v_cmp_gt_u32_e32 vcc, 64, v0
	s_and_saveexec_b64 s[2:3], vcc
	s_cbranch_execnz .LBB17_15
.LBB17_12:
	s_endpgm
.LBB17_13:
	s_load_dwordx2 s[4:5], s[4:5], 0x10
	v_mov_b32_e32 v1, 0
	s_waitcnt lgkmcnt(0)
	global_store_dword v1, v1, s[4:5]
	s_or_b64 exec, exec, s[2:3]
	v_cmp_gt_u32_e32 vcc, s10, v0
	s_and_saveexec_b64 s[2:3], vcc
	s_cbranch_execz .LBB17_11
.LBB17_14:
	v_add_u32_e32 v2, 64, v0
	v_mov_b32_e32 v3, 0
	v_lshlrev_b64 v[4:5], 3, v[2:3]
	v_mov_b32_e32 v1, s1
	v_add_co_u32_e32 v4, vcc, s0, v4
	v_addc_co_u32_e32 v5, vcc, v1, v5, vcc
	v_mov_b32_e32 v2, v3
	global_store_dwordx2 v[4:5], v[2:3], off
	s_or_b64 exec, exec, s[2:3]
	v_cmp_gt_u32_e32 vcc, 64, v0
	s_and_saveexec_b64 s[2:3], vcc
	s_cbranch_execz .LBB17_12
.LBB17_15:
	v_mov_b32_e32 v1, 0
	v_lshlrev_b64 v[2:3], 3, v[0:1]
	v_mov_b32_e32 v0, s1
	v_add_co_u32_e32 v2, vcc, s0, v2
	v_addc_co_u32_e32 v3, vcc, v0, v3, vcc
	v_mov_b32_e32 v5, 0xff
	v_mov_b32_e32 v4, v1
	global_store_dwordx2 v[2:3], v[4:5], off
	s_endpgm
	.section	.rodata,"a",@progbits
	.p2align	6, 0x0
	.amdhsa_kernel _ZN7rocprim17ROCPRIM_400000_NS6detail31init_lookback_scan_state_kernelINS1_19lookback_scan_stateIjLb1ELb1EEENS1_16block_id_wrapperIjLb1EEEEEvT_jT0_jPNS7_10value_typeE
		.amdhsa_group_segment_fixed_size 0
		.amdhsa_private_segment_fixed_size 0
		.amdhsa_kernarg_size 296
		.amdhsa_user_sgpr_count 6
		.amdhsa_user_sgpr_private_segment_buffer 1
		.amdhsa_user_sgpr_dispatch_ptr 0
		.amdhsa_user_sgpr_queue_ptr 0
		.amdhsa_user_sgpr_kernarg_segment_ptr 1
		.amdhsa_user_sgpr_dispatch_id 0
		.amdhsa_user_sgpr_flat_scratch_init 0
		.amdhsa_user_sgpr_kernarg_preload_length 0
		.amdhsa_user_sgpr_kernarg_preload_offset 0
		.amdhsa_user_sgpr_private_segment_size 0
		.amdhsa_uses_dynamic_stack 0
		.amdhsa_system_sgpr_private_segment_wavefront_offset 0
		.amdhsa_system_sgpr_workgroup_id_x 1
		.amdhsa_system_sgpr_workgroup_id_y 0
		.amdhsa_system_sgpr_workgroup_id_z 0
		.amdhsa_system_sgpr_workgroup_info 0
		.amdhsa_system_vgpr_workitem_id 0
		.amdhsa_next_free_vgpr 6
		.amdhsa_next_free_sgpr 14
		.amdhsa_accum_offset 8
		.amdhsa_reserve_vcc 1
		.amdhsa_reserve_flat_scratch 0
		.amdhsa_float_round_mode_32 0
		.amdhsa_float_round_mode_16_64 0
		.amdhsa_float_denorm_mode_32 3
		.amdhsa_float_denorm_mode_16_64 3
		.amdhsa_dx10_clamp 1
		.amdhsa_ieee_mode 1
		.amdhsa_fp16_overflow 0
		.amdhsa_tg_split 0
		.amdhsa_exception_fp_ieee_invalid_op 0
		.amdhsa_exception_fp_denorm_src 0
		.amdhsa_exception_fp_ieee_div_zero 0
		.amdhsa_exception_fp_ieee_overflow 0
		.amdhsa_exception_fp_ieee_underflow 0
		.amdhsa_exception_fp_ieee_inexact 0
		.amdhsa_exception_int_div_zero 0
	.end_amdhsa_kernel
	.section	.text._ZN7rocprim17ROCPRIM_400000_NS6detail31init_lookback_scan_state_kernelINS1_19lookback_scan_stateIjLb1ELb1EEENS1_16block_id_wrapperIjLb1EEEEEvT_jT0_jPNS7_10value_typeE,"axG",@progbits,_ZN7rocprim17ROCPRIM_400000_NS6detail31init_lookback_scan_state_kernelINS1_19lookback_scan_stateIjLb1ELb1EEENS1_16block_id_wrapperIjLb1EEEEEvT_jT0_jPNS7_10value_typeE,comdat
.Lfunc_end17:
	.size	_ZN7rocprim17ROCPRIM_400000_NS6detail31init_lookback_scan_state_kernelINS1_19lookback_scan_stateIjLb1ELb1EEENS1_16block_id_wrapperIjLb1EEEEEvT_jT0_jPNS7_10value_typeE, .Lfunc_end17-_ZN7rocprim17ROCPRIM_400000_NS6detail31init_lookback_scan_state_kernelINS1_19lookback_scan_stateIjLb1ELb1EEENS1_16block_id_wrapperIjLb1EEEEEvT_jT0_jPNS7_10value_typeE
                                        ; -- End function
	.section	.AMDGPU.csdata,"",@progbits
; Kernel info:
; codeLenInByte = 420
; NumSgprs: 18
; NumVgprs: 6
; NumAgprs: 0
; TotalNumVgprs: 6
; ScratchSize: 0
; MemoryBound: 0
; FloatMode: 240
; IeeeMode: 1
; LDSByteSize: 0 bytes/workgroup (compile time only)
; SGPRBlocks: 2
; VGPRBlocks: 0
; NumSGPRsForWavesPerEU: 18
; NumVGPRsForWavesPerEU: 6
; AccumOffset: 8
; Occupancy: 8
; WaveLimiterHint : 0
; COMPUTE_PGM_RSRC2:SCRATCH_EN: 0
; COMPUTE_PGM_RSRC2:USER_SGPR: 6
; COMPUTE_PGM_RSRC2:TRAP_HANDLER: 0
; COMPUTE_PGM_RSRC2:TGID_X_EN: 1
; COMPUTE_PGM_RSRC2:TGID_Y_EN: 0
; COMPUTE_PGM_RSRC2:TGID_Z_EN: 0
; COMPUTE_PGM_RSRC2:TIDIG_COMP_CNT: 0
; COMPUTE_PGM_RSRC3_GFX90A:ACCUM_OFFSET: 1
; COMPUTE_PGM_RSRC3_GFX90A:TG_SPLIT: 0
	.section	.text._ZN7rocprim17ROCPRIM_400000_NS6detail17trampoline_kernelINS0_14default_configENS1_25partition_config_selectorILNS1_17partition_subalgoE9EiibEEZZNS1_14partition_implILS5_9ELb0ES3_jPKiN6thrust23THRUST_200600_302600_NS17counting_iteratorIiNSB_11use_defaultESD_SD_EEPNS0_10empty_typeENS0_5tupleIJPiSF_EEENSH_IJSI_SG_EEENS0_18inequality_wrapperIN6hipcub16HIPCUB_304000_NS8EqualityEEEPlJSF_EEE10hipError_tPvRmT3_T4_T5_T6_T7_T9_mT8_P12ihipStream_tbDpT10_ENKUlT_T0_E_clISt17integral_constantIbLb1EES1A_EEDaS15_S16_EUlS15_E_NS1_11comp_targetILNS1_3genE0ELNS1_11target_archE4294967295ELNS1_3gpuE0ELNS1_3repE0EEENS1_30default_config_static_selectorELNS0_4arch9wavefront6targetE1EEEvT1_,"axG",@progbits,_ZN7rocprim17ROCPRIM_400000_NS6detail17trampoline_kernelINS0_14default_configENS1_25partition_config_selectorILNS1_17partition_subalgoE9EiibEEZZNS1_14partition_implILS5_9ELb0ES3_jPKiN6thrust23THRUST_200600_302600_NS17counting_iteratorIiNSB_11use_defaultESD_SD_EEPNS0_10empty_typeENS0_5tupleIJPiSF_EEENSH_IJSI_SG_EEENS0_18inequality_wrapperIN6hipcub16HIPCUB_304000_NS8EqualityEEEPlJSF_EEE10hipError_tPvRmT3_T4_T5_T6_T7_T9_mT8_P12ihipStream_tbDpT10_ENKUlT_T0_E_clISt17integral_constantIbLb1EES1A_EEDaS15_S16_EUlS15_E_NS1_11comp_targetILNS1_3genE0ELNS1_11target_archE4294967295ELNS1_3gpuE0ELNS1_3repE0EEENS1_30default_config_static_selectorELNS0_4arch9wavefront6targetE1EEEvT1_,comdat
	.protected	_ZN7rocprim17ROCPRIM_400000_NS6detail17trampoline_kernelINS0_14default_configENS1_25partition_config_selectorILNS1_17partition_subalgoE9EiibEEZZNS1_14partition_implILS5_9ELb0ES3_jPKiN6thrust23THRUST_200600_302600_NS17counting_iteratorIiNSB_11use_defaultESD_SD_EEPNS0_10empty_typeENS0_5tupleIJPiSF_EEENSH_IJSI_SG_EEENS0_18inequality_wrapperIN6hipcub16HIPCUB_304000_NS8EqualityEEEPlJSF_EEE10hipError_tPvRmT3_T4_T5_T6_T7_T9_mT8_P12ihipStream_tbDpT10_ENKUlT_T0_E_clISt17integral_constantIbLb1EES1A_EEDaS15_S16_EUlS15_E_NS1_11comp_targetILNS1_3genE0ELNS1_11target_archE4294967295ELNS1_3gpuE0ELNS1_3repE0EEENS1_30default_config_static_selectorELNS0_4arch9wavefront6targetE1EEEvT1_ ; -- Begin function _ZN7rocprim17ROCPRIM_400000_NS6detail17trampoline_kernelINS0_14default_configENS1_25partition_config_selectorILNS1_17partition_subalgoE9EiibEEZZNS1_14partition_implILS5_9ELb0ES3_jPKiN6thrust23THRUST_200600_302600_NS17counting_iteratorIiNSB_11use_defaultESD_SD_EEPNS0_10empty_typeENS0_5tupleIJPiSF_EEENSH_IJSI_SG_EEENS0_18inequality_wrapperIN6hipcub16HIPCUB_304000_NS8EqualityEEEPlJSF_EEE10hipError_tPvRmT3_T4_T5_T6_T7_T9_mT8_P12ihipStream_tbDpT10_ENKUlT_T0_E_clISt17integral_constantIbLb1EES1A_EEDaS15_S16_EUlS15_E_NS1_11comp_targetILNS1_3genE0ELNS1_11target_archE4294967295ELNS1_3gpuE0ELNS1_3repE0EEENS1_30default_config_static_selectorELNS0_4arch9wavefront6targetE1EEEvT1_
	.globl	_ZN7rocprim17ROCPRIM_400000_NS6detail17trampoline_kernelINS0_14default_configENS1_25partition_config_selectorILNS1_17partition_subalgoE9EiibEEZZNS1_14partition_implILS5_9ELb0ES3_jPKiN6thrust23THRUST_200600_302600_NS17counting_iteratorIiNSB_11use_defaultESD_SD_EEPNS0_10empty_typeENS0_5tupleIJPiSF_EEENSH_IJSI_SG_EEENS0_18inequality_wrapperIN6hipcub16HIPCUB_304000_NS8EqualityEEEPlJSF_EEE10hipError_tPvRmT3_T4_T5_T6_T7_T9_mT8_P12ihipStream_tbDpT10_ENKUlT_T0_E_clISt17integral_constantIbLb1EES1A_EEDaS15_S16_EUlS15_E_NS1_11comp_targetILNS1_3genE0ELNS1_11target_archE4294967295ELNS1_3gpuE0ELNS1_3repE0EEENS1_30default_config_static_selectorELNS0_4arch9wavefront6targetE1EEEvT1_
	.p2align	8
	.type	_ZN7rocprim17ROCPRIM_400000_NS6detail17trampoline_kernelINS0_14default_configENS1_25partition_config_selectorILNS1_17partition_subalgoE9EiibEEZZNS1_14partition_implILS5_9ELb0ES3_jPKiN6thrust23THRUST_200600_302600_NS17counting_iteratorIiNSB_11use_defaultESD_SD_EEPNS0_10empty_typeENS0_5tupleIJPiSF_EEENSH_IJSI_SG_EEENS0_18inequality_wrapperIN6hipcub16HIPCUB_304000_NS8EqualityEEEPlJSF_EEE10hipError_tPvRmT3_T4_T5_T6_T7_T9_mT8_P12ihipStream_tbDpT10_ENKUlT_T0_E_clISt17integral_constantIbLb1EES1A_EEDaS15_S16_EUlS15_E_NS1_11comp_targetILNS1_3genE0ELNS1_11target_archE4294967295ELNS1_3gpuE0ELNS1_3repE0EEENS1_30default_config_static_selectorELNS0_4arch9wavefront6targetE1EEEvT1_,@function
_ZN7rocprim17ROCPRIM_400000_NS6detail17trampoline_kernelINS0_14default_configENS1_25partition_config_selectorILNS1_17partition_subalgoE9EiibEEZZNS1_14partition_implILS5_9ELb0ES3_jPKiN6thrust23THRUST_200600_302600_NS17counting_iteratorIiNSB_11use_defaultESD_SD_EEPNS0_10empty_typeENS0_5tupleIJPiSF_EEENSH_IJSI_SG_EEENS0_18inequality_wrapperIN6hipcub16HIPCUB_304000_NS8EqualityEEEPlJSF_EEE10hipError_tPvRmT3_T4_T5_T6_T7_T9_mT8_P12ihipStream_tbDpT10_ENKUlT_T0_E_clISt17integral_constantIbLb1EES1A_EEDaS15_S16_EUlS15_E_NS1_11comp_targetILNS1_3genE0ELNS1_11target_archE4294967295ELNS1_3gpuE0ELNS1_3repE0EEENS1_30default_config_static_selectorELNS0_4arch9wavefront6targetE1EEEvT1_: ; @_ZN7rocprim17ROCPRIM_400000_NS6detail17trampoline_kernelINS0_14default_configENS1_25partition_config_selectorILNS1_17partition_subalgoE9EiibEEZZNS1_14partition_implILS5_9ELb0ES3_jPKiN6thrust23THRUST_200600_302600_NS17counting_iteratorIiNSB_11use_defaultESD_SD_EEPNS0_10empty_typeENS0_5tupleIJPiSF_EEENSH_IJSI_SG_EEENS0_18inequality_wrapperIN6hipcub16HIPCUB_304000_NS8EqualityEEEPlJSF_EEE10hipError_tPvRmT3_T4_T5_T6_T7_T9_mT8_P12ihipStream_tbDpT10_ENKUlT_T0_E_clISt17integral_constantIbLb1EES1A_EEDaS15_S16_EUlS15_E_NS1_11comp_targetILNS1_3genE0ELNS1_11target_archE4294967295ELNS1_3gpuE0ELNS1_3repE0EEENS1_30default_config_static_selectorELNS0_4arch9wavefront6targetE1EEEvT1_
; %bb.0:
	.section	.rodata,"a",@progbits
	.p2align	6, 0x0
	.amdhsa_kernel _ZN7rocprim17ROCPRIM_400000_NS6detail17trampoline_kernelINS0_14default_configENS1_25partition_config_selectorILNS1_17partition_subalgoE9EiibEEZZNS1_14partition_implILS5_9ELb0ES3_jPKiN6thrust23THRUST_200600_302600_NS17counting_iteratorIiNSB_11use_defaultESD_SD_EEPNS0_10empty_typeENS0_5tupleIJPiSF_EEENSH_IJSI_SG_EEENS0_18inequality_wrapperIN6hipcub16HIPCUB_304000_NS8EqualityEEEPlJSF_EEE10hipError_tPvRmT3_T4_T5_T6_T7_T9_mT8_P12ihipStream_tbDpT10_ENKUlT_T0_E_clISt17integral_constantIbLb1EES1A_EEDaS15_S16_EUlS15_E_NS1_11comp_targetILNS1_3genE0ELNS1_11target_archE4294967295ELNS1_3gpuE0ELNS1_3repE0EEENS1_30default_config_static_selectorELNS0_4arch9wavefront6targetE1EEEvT1_
		.amdhsa_group_segment_fixed_size 0
		.amdhsa_private_segment_fixed_size 0
		.amdhsa_kernarg_size 128
		.amdhsa_user_sgpr_count 6
		.amdhsa_user_sgpr_private_segment_buffer 1
		.amdhsa_user_sgpr_dispatch_ptr 0
		.amdhsa_user_sgpr_queue_ptr 0
		.amdhsa_user_sgpr_kernarg_segment_ptr 1
		.amdhsa_user_sgpr_dispatch_id 0
		.amdhsa_user_sgpr_flat_scratch_init 0
		.amdhsa_user_sgpr_kernarg_preload_length 0
		.amdhsa_user_sgpr_kernarg_preload_offset 0
		.amdhsa_user_sgpr_private_segment_size 0
		.amdhsa_uses_dynamic_stack 0
		.amdhsa_system_sgpr_private_segment_wavefront_offset 0
		.amdhsa_system_sgpr_workgroup_id_x 1
		.amdhsa_system_sgpr_workgroup_id_y 0
		.amdhsa_system_sgpr_workgroup_id_z 0
		.amdhsa_system_sgpr_workgroup_info 0
		.amdhsa_system_vgpr_workitem_id 0
		.amdhsa_next_free_vgpr 1
		.amdhsa_next_free_sgpr 0
		.amdhsa_accum_offset 4
		.amdhsa_reserve_vcc 0
		.amdhsa_reserve_flat_scratch 0
		.amdhsa_float_round_mode_32 0
		.amdhsa_float_round_mode_16_64 0
		.amdhsa_float_denorm_mode_32 3
		.amdhsa_float_denorm_mode_16_64 3
		.amdhsa_dx10_clamp 1
		.amdhsa_ieee_mode 1
		.amdhsa_fp16_overflow 0
		.amdhsa_tg_split 0
		.amdhsa_exception_fp_ieee_invalid_op 0
		.amdhsa_exception_fp_denorm_src 0
		.amdhsa_exception_fp_ieee_div_zero 0
		.amdhsa_exception_fp_ieee_overflow 0
		.amdhsa_exception_fp_ieee_underflow 0
		.amdhsa_exception_fp_ieee_inexact 0
		.amdhsa_exception_int_div_zero 0
	.end_amdhsa_kernel
	.section	.text._ZN7rocprim17ROCPRIM_400000_NS6detail17trampoline_kernelINS0_14default_configENS1_25partition_config_selectorILNS1_17partition_subalgoE9EiibEEZZNS1_14partition_implILS5_9ELb0ES3_jPKiN6thrust23THRUST_200600_302600_NS17counting_iteratorIiNSB_11use_defaultESD_SD_EEPNS0_10empty_typeENS0_5tupleIJPiSF_EEENSH_IJSI_SG_EEENS0_18inequality_wrapperIN6hipcub16HIPCUB_304000_NS8EqualityEEEPlJSF_EEE10hipError_tPvRmT3_T4_T5_T6_T7_T9_mT8_P12ihipStream_tbDpT10_ENKUlT_T0_E_clISt17integral_constantIbLb1EES1A_EEDaS15_S16_EUlS15_E_NS1_11comp_targetILNS1_3genE0ELNS1_11target_archE4294967295ELNS1_3gpuE0ELNS1_3repE0EEENS1_30default_config_static_selectorELNS0_4arch9wavefront6targetE1EEEvT1_,"axG",@progbits,_ZN7rocprim17ROCPRIM_400000_NS6detail17trampoline_kernelINS0_14default_configENS1_25partition_config_selectorILNS1_17partition_subalgoE9EiibEEZZNS1_14partition_implILS5_9ELb0ES3_jPKiN6thrust23THRUST_200600_302600_NS17counting_iteratorIiNSB_11use_defaultESD_SD_EEPNS0_10empty_typeENS0_5tupleIJPiSF_EEENSH_IJSI_SG_EEENS0_18inequality_wrapperIN6hipcub16HIPCUB_304000_NS8EqualityEEEPlJSF_EEE10hipError_tPvRmT3_T4_T5_T6_T7_T9_mT8_P12ihipStream_tbDpT10_ENKUlT_T0_E_clISt17integral_constantIbLb1EES1A_EEDaS15_S16_EUlS15_E_NS1_11comp_targetILNS1_3genE0ELNS1_11target_archE4294967295ELNS1_3gpuE0ELNS1_3repE0EEENS1_30default_config_static_selectorELNS0_4arch9wavefront6targetE1EEEvT1_,comdat
.Lfunc_end18:
	.size	_ZN7rocprim17ROCPRIM_400000_NS6detail17trampoline_kernelINS0_14default_configENS1_25partition_config_selectorILNS1_17partition_subalgoE9EiibEEZZNS1_14partition_implILS5_9ELb0ES3_jPKiN6thrust23THRUST_200600_302600_NS17counting_iteratorIiNSB_11use_defaultESD_SD_EEPNS0_10empty_typeENS0_5tupleIJPiSF_EEENSH_IJSI_SG_EEENS0_18inequality_wrapperIN6hipcub16HIPCUB_304000_NS8EqualityEEEPlJSF_EEE10hipError_tPvRmT3_T4_T5_T6_T7_T9_mT8_P12ihipStream_tbDpT10_ENKUlT_T0_E_clISt17integral_constantIbLb1EES1A_EEDaS15_S16_EUlS15_E_NS1_11comp_targetILNS1_3genE0ELNS1_11target_archE4294967295ELNS1_3gpuE0ELNS1_3repE0EEENS1_30default_config_static_selectorELNS0_4arch9wavefront6targetE1EEEvT1_, .Lfunc_end18-_ZN7rocprim17ROCPRIM_400000_NS6detail17trampoline_kernelINS0_14default_configENS1_25partition_config_selectorILNS1_17partition_subalgoE9EiibEEZZNS1_14partition_implILS5_9ELb0ES3_jPKiN6thrust23THRUST_200600_302600_NS17counting_iteratorIiNSB_11use_defaultESD_SD_EEPNS0_10empty_typeENS0_5tupleIJPiSF_EEENSH_IJSI_SG_EEENS0_18inequality_wrapperIN6hipcub16HIPCUB_304000_NS8EqualityEEEPlJSF_EEE10hipError_tPvRmT3_T4_T5_T6_T7_T9_mT8_P12ihipStream_tbDpT10_ENKUlT_T0_E_clISt17integral_constantIbLb1EES1A_EEDaS15_S16_EUlS15_E_NS1_11comp_targetILNS1_3genE0ELNS1_11target_archE4294967295ELNS1_3gpuE0ELNS1_3repE0EEENS1_30default_config_static_selectorELNS0_4arch9wavefront6targetE1EEEvT1_
                                        ; -- End function
	.section	.AMDGPU.csdata,"",@progbits
; Kernel info:
; codeLenInByte = 0
; NumSgprs: 4
; NumVgprs: 0
; NumAgprs: 0
; TotalNumVgprs: 0
; ScratchSize: 0
; MemoryBound: 0
; FloatMode: 240
; IeeeMode: 1
; LDSByteSize: 0 bytes/workgroup (compile time only)
; SGPRBlocks: 0
; VGPRBlocks: 0
; NumSGPRsForWavesPerEU: 4
; NumVGPRsForWavesPerEU: 1
; AccumOffset: 4
; Occupancy: 8
; WaveLimiterHint : 0
; COMPUTE_PGM_RSRC2:SCRATCH_EN: 0
; COMPUTE_PGM_RSRC2:USER_SGPR: 6
; COMPUTE_PGM_RSRC2:TRAP_HANDLER: 0
; COMPUTE_PGM_RSRC2:TGID_X_EN: 1
; COMPUTE_PGM_RSRC2:TGID_Y_EN: 0
; COMPUTE_PGM_RSRC2:TGID_Z_EN: 0
; COMPUTE_PGM_RSRC2:TIDIG_COMP_CNT: 0
; COMPUTE_PGM_RSRC3_GFX90A:ACCUM_OFFSET: 0
; COMPUTE_PGM_RSRC3_GFX90A:TG_SPLIT: 0
	.section	.text._ZN7rocprim17ROCPRIM_400000_NS6detail17trampoline_kernelINS0_14default_configENS1_25partition_config_selectorILNS1_17partition_subalgoE9EiibEEZZNS1_14partition_implILS5_9ELb0ES3_jPKiN6thrust23THRUST_200600_302600_NS17counting_iteratorIiNSB_11use_defaultESD_SD_EEPNS0_10empty_typeENS0_5tupleIJPiSF_EEENSH_IJSI_SG_EEENS0_18inequality_wrapperIN6hipcub16HIPCUB_304000_NS8EqualityEEEPlJSF_EEE10hipError_tPvRmT3_T4_T5_T6_T7_T9_mT8_P12ihipStream_tbDpT10_ENKUlT_T0_E_clISt17integral_constantIbLb1EES1A_EEDaS15_S16_EUlS15_E_NS1_11comp_targetILNS1_3genE5ELNS1_11target_archE942ELNS1_3gpuE9ELNS1_3repE0EEENS1_30default_config_static_selectorELNS0_4arch9wavefront6targetE1EEEvT1_,"axG",@progbits,_ZN7rocprim17ROCPRIM_400000_NS6detail17trampoline_kernelINS0_14default_configENS1_25partition_config_selectorILNS1_17partition_subalgoE9EiibEEZZNS1_14partition_implILS5_9ELb0ES3_jPKiN6thrust23THRUST_200600_302600_NS17counting_iteratorIiNSB_11use_defaultESD_SD_EEPNS0_10empty_typeENS0_5tupleIJPiSF_EEENSH_IJSI_SG_EEENS0_18inequality_wrapperIN6hipcub16HIPCUB_304000_NS8EqualityEEEPlJSF_EEE10hipError_tPvRmT3_T4_T5_T6_T7_T9_mT8_P12ihipStream_tbDpT10_ENKUlT_T0_E_clISt17integral_constantIbLb1EES1A_EEDaS15_S16_EUlS15_E_NS1_11comp_targetILNS1_3genE5ELNS1_11target_archE942ELNS1_3gpuE9ELNS1_3repE0EEENS1_30default_config_static_selectorELNS0_4arch9wavefront6targetE1EEEvT1_,comdat
	.protected	_ZN7rocprim17ROCPRIM_400000_NS6detail17trampoline_kernelINS0_14default_configENS1_25partition_config_selectorILNS1_17partition_subalgoE9EiibEEZZNS1_14partition_implILS5_9ELb0ES3_jPKiN6thrust23THRUST_200600_302600_NS17counting_iteratorIiNSB_11use_defaultESD_SD_EEPNS0_10empty_typeENS0_5tupleIJPiSF_EEENSH_IJSI_SG_EEENS0_18inequality_wrapperIN6hipcub16HIPCUB_304000_NS8EqualityEEEPlJSF_EEE10hipError_tPvRmT3_T4_T5_T6_T7_T9_mT8_P12ihipStream_tbDpT10_ENKUlT_T0_E_clISt17integral_constantIbLb1EES1A_EEDaS15_S16_EUlS15_E_NS1_11comp_targetILNS1_3genE5ELNS1_11target_archE942ELNS1_3gpuE9ELNS1_3repE0EEENS1_30default_config_static_selectorELNS0_4arch9wavefront6targetE1EEEvT1_ ; -- Begin function _ZN7rocprim17ROCPRIM_400000_NS6detail17trampoline_kernelINS0_14default_configENS1_25partition_config_selectorILNS1_17partition_subalgoE9EiibEEZZNS1_14partition_implILS5_9ELb0ES3_jPKiN6thrust23THRUST_200600_302600_NS17counting_iteratorIiNSB_11use_defaultESD_SD_EEPNS0_10empty_typeENS0_5tupleIJPiSF_EEENSH_IJSI_SG_EEENS0_18inequality_wrapperIN6hipcub16HIPCUB_304000_NS8EqualityEEEPlJSF_EEE10hipError_tPvRmT3_T4_T5_T6_T7_T9_mT8_P12ihipStream_tbDpT10_ENKUlT_T0_E_clISt17integral_constantIbLb1EES1A_EEDaS15_S16_EUlS15_E_NS1_11comp_targetILNS1_3genE5ELNS1_11target_archE942ELNS1_3gpuE9ELNS1_3repE0EEENS1_30default_config_static_selectorELNS0_4arch9wavefront6targetE1EEEvT1_
	.globl	_ZN7rocprim17ROCPRIM_400000_NS6detail17trampoline_kernelINS0_14default_configENS1_25partition_config_selectorILNS1_17partition_subalgoE9EiibEEZZNS1_14partition_implILS5_9ELb0ES3_jPKiN6thrust23THRUST_200600_302600_NS17counting_iteratorIiNSB_11use_defaultESD_SD_EEPNS0_10empty_typeENS0_5tupleIJPiSF_EEENSH_IJSI_SG_EEENS0_18inequality_wrapperIN6hipcub16HIPCUB_304000_NS8EqualityEEEPlJSF_EEE10hipError_tPvRmT3_T4_T5_T6_T7_T9_mT8_P12ihipStream_tbDpT10_ENKUlT_T0_E_clISt17integral_constantIbLb1EES1A_EEDaS15_S16_EUlS15_E_NS1_11comp_targetILNS1_3genE5ELNS1_11target_archE942ELNS1_3gpuE9ELNS1_3repE0EEENS1_30default_config_static_selectorELNS0_4arch9wavefront6targetE1EEEvT1_
	.p2align	8
	.type	_ZN7rocprim17ROCPRIM_400000_NS6detail17trampoline_kernelINS0_14default_configENS1_25partition_config_selectorILNS1_17partition_subalgoE9EiibEEZZNS1_14partition_implILS5_9ELb0ES3_jPKiN6thrust23THRUST_200600_302600_NS17counting_iteratorIiNSB_11use_defaultESD_SD_EEPNS0_10empty_typeENS0_5tupleIJPiSF_EEENSH_IJSI_SG_EEENS0_18inequality_wrapperIN6hipcub16HIPCUB_304000_NS8EqualityEEEPlJSF_EEE10hipError_tPvRmT3_T4_T5_T6_T7_T9_mT8_P12ihipStream_tbDpT10_ENKUlT_T0_E_clISt17integral_constantIbLb1EES1A_EEDaS15_S16_EUlS15_E_NS1_11comp_targetILNS1_3genE5ELNS1_11target_archE942ELNS1_3gpuE9ELNS1_3repE0EEENS1_30default_config_static_selectorELNS0_4arch9wavefront6targetE1EEEvT1_,@function
_ZN7rocprim17ROCPRIM_400000_NS6detail17trampoline_kernelINS0_14default_configENS1_25partition_config_selectorILNS1_17partition_subalgoE9EiibEEZZNS1_14partition_implILS5_9ELb0ES3_jPKiN6thrust23THRUST_200600_302600_NS17counting_iteratorIiNSB_11use_defaultESD_SD_EEPNS0_10empty_typeENS0_5tupleIJPiSF_EEENSH_IJSI_SG_EEENS0_18inequality_wrapperIN6hipcub16HIPCUB_304000_NS8EqualityEEEPlJSF_EEE10hipError_tPvRmT3_T4_T5_T6_T7_T9_mT8_P12ihipStream_tbDpT10_ENKUlT_T0_E_clISt17integral_constantIbLb1EES1A_EEDaS15_S16_EUlS15_E_NS1_11comp_targetILNS1_3genE5ELNS1_11target_archE942ELNS1_3gpuE9ELNS1_3repE0EEENS1_30default_config_static_selectorELNS0_4arch9wavefront6targetE1EEEvT1_: ; @_ZN7rocprim17ROCPRIM_400000_NS6detail17trampoline_kernelINS0_14default_configENS1_25partition_config_selectorILNS1_17partition_subalgoE9EiibEEZZNS1_14partition_implILS5_9ELb0ES3_jPKiN6thrust23THRUST_200600_302600_NS17counting_iteratorIiNSB_11use_defaultESD_SD_EEPNS0_10empty_typeENS0_5tupleIJPiSF_EEENSH_IJSI_SG_EEENS0_18inequality_wrapperIN6hipcub16HIPCUB_304000_NS8EqualityEEEPlJSF_EEE10hipError_tPvRmT3_T4_T5_T6_T7_T9_mT8_P12ihipStream_tbDpT10_ENKUlT_T0_E_clISt17integral_constantIbLb1EES1A_EEDaS15_S16_EUlS15_E_NS1_11comp_targetILNS1_3genE5ELNS1_11target_archE942ELNS1_3gpuE9ELNS1_3repE0EEENS1_30default_config_static_selectorELNS0_4arch9wavefront6targetE1EEEvT1_
; %bb.0:
	.section	.rodata,"a",@progbits
	.p2align	6, 0x0
	.amdhsa_kernel _ZN7rocprim17ROCPRIM_400000_NS6detail17trampoline_kernelINS0_14default_configENS1_25partition_config_selectorILNS1_17partition_subalgoE9EiibEEZZNS1_14partition_implILS5_9ELb0ES3_jPKiN6thrust23THRUST_200600_302600_NS17counting_iteratorIiNSB_11use_defaultESD_SD_EEPNS0_10empty_typeENS0_5tupleIJPiSF_EEENSH_IJSI_SG_EEENS0_18inequality_wrapperIN6hipcub16HIPCUB_304000_NS8EqualityEEEPlJSF_EEE10hipError_tPvRmT3_T4_T5_T6_T7_T9_mT8_P12ihipStream_tbDpT10_ENKUlT_T0_E_clISt17integral_constantIbLb1EES1A_EEDaS15_S16_EUlS15_E_NS1_11comp_targetILNS1_3genE5ELNS1_11target_archE942ELNS1_3gpuE9ELNS1_3repE0EEENS1_30default_config_static_selectorELNS0_4arch9wavefront6targetE1EEEvT1_
		.amdhsa_group_segment_fixed_size 0
		.amdhsa_private_segment_fixed_size 0
		.amdhsa_kernarg_size 128
		.amdhsa_user_sgpr_count 6
		.amdhsa_user_sgpr_private_segment_buffer 1
		.amdhsa_user_sgpr_dispatch_ptr 0
		.amdhsa_user_sgpr_queue_ptr 0
		.amdhsa_user_sgpr_kernarg_segment_ptr 1
		.amdhsa_user_sgpr_dispatch_id 0
		.amdhsa_user_sgpr_flat_scratch_init 0
		.amdhsa_user_sgpr_kernarg_preload_length 0
		.amdhsa_user_sgpr_kernarg_preload_offset 0
		.amdhsa_user_sgpr_private_segment_size 0
		.amdhsa_uses_dynamic_stack 0
		.amdhsa_system_sgpr_private_segment_wavefront_offset 0
		.amdhsa_system_sgpr_workgroup_id_x 1
		.amdhsa_system_sgpr_workgroup_id_y 0
		.amdhsa_system_sgpr_workgroup_id_z 0
		.amdhsa_system_sgpr_workgroup_info 0
		.amdhsa_system_vgpr_workitem_id 0
		.amdhsa_next_free_vgpr 1
		.amdhsa_next_free_sgpr 0
		.amdhsa_accum_offset 4
		.amdhsa_reserve_vcc 0
		.amdhsa_reserve_flat_scratch 0
		.amdhsa_float_round_mode_32 0
		.amdhsa_float_round_mode_16_64 0
		.amdhsa_float_denorm_mode_32 3
		.amdhsa_float_denorm_mode_16_64 3
		.amdhsa_dx10_clamp 1
		.amdhsa_ieee_mode 1
		.amdhsa_fp16_overflow 0
		.amdhsa_tg_split 0
		.amdhsa_exception_fp_ieee_invalid_op 0
		.amdhsa_exception_fp_denorm_src 0
		.amdhsa_exception_fp_ieee_div_zero 0
		.amdhsa_exception_fp_ieee_overflow 0
		.amdhsa_exception_fp_ieee_underflow 0
		.amdhsa_exception_fp_ieee_inexact 0
		.amdhsa_exception_int_div_zero 0
	.end_amdhsa_kernel
	.section	.text._ZN7rocprim17ROCPRIM_400000_NS6detail17trampoline_kernelINS0_14default_configENS1_25partition_config_selectorILNS1_17partition_subalgoE9EiibEEZZNS1_14partition_implILS5_9ELb0ES3_jPKiN6thrust23THRUST_200600_302600_NS17counting_iteratorIiNSB_11use_defaultESD_SD_EEPNS0_10empty_typeENS0_5tupleIJPiSF_EEENSH_IJSI_SG_EEENS0_18inequality_wrapperIN6hipcub16HIPCUB_304000_NS8EqualityEEEPlJSF_EEE10hipError_tPvRmT3_T4_T5_T6_T7_T9_mT8_P12ihipStream_tbDpT10_ENKUlT_T0_E_clISt17integral_constantIbLb1EES1A_EEDaS15_S16_EUlS15_E_NS1_11comp_targetILNS1_3genE5ELNS1_11target_archE942ELNS1_3gpuE9ELNS1_3repE0EEENS1_30default_config_static_selectorELNS0_4arch9wavefront6targetE1EEEvT1_,"axG",@progbits,_ZN7rocprim17ROCPRIM_400000_NS6detail17trampoline_kernelINS0_14default_configENS1_25partition_config_selectorILNS1_17partition_subalgoE9EiibEEZZNS1_14partition_implILS5_9ELb0ES3_jPKiN6thrust23THRUST_200600_302600_NS17counting_iteratorIiNSB_11use_defaultESD_SD_EEPNS0_10empty_typeENS0_5tupleIJPiSF_EEENSH_IJSI_SG_EEENS0_18inequality_wrapperIN6hipcub16HIPCUB_304000_NS8EqualityEEEPlJSF_EEE10hipError_tPvRmT3_T4_T5_T6_T7_T9_mT8_P12ihipStream_tbDpT10_ENKUlT_T0_E_clISt17integral_constantIbLb1EES1A_EEDaS15_S16_EUlS15_E_NS1_11comp_targetILNS1_3genE5ELNS1_11target_archE942ELNS1_3gpuE9ELNS1_3repE0EEENS1_30default_config_static_selectorELNS0_4arch9wavefront6targetE1EEEvT1_,comdat
.Lfunc_end19:
	.size	_ZN7rocprim17ROCPRIM_400000_NS6detail17trampoline_kernelINS0_14default_configENS1_25partition_config_selectorILNS1_17partition_subalgoE9EiibEEZZNS1_14partition_implILS5_9ELb0ES3_jPKiN6thrust23THRUST_200600_302600_NS17counting_iteratorIiNSB_11use_defaultESD_SD_EEPNS0_10empty_typeENS0_5tupleIJPiSF_EEENSH_IJSI_SG_EEENS0_18inequality_wrapperIN6hipcub16HIPCUB_304000_NS8EqualityEEEPlJSF_EEE10hipError_tPvRmT3_T4_T5_T6_T7_T9_mT8_P12ihipStream_tbDpT10_ENKUlT_T0_E_clISt17integral_constantIbLb1EES1A_EEDaS15_S16_EUlS15_E_NS1_11comp_targetILNS1_3genE5ELNS1_11target_archE942ELNS1_3gpuE9ELNS1_3repE0EEENS1_30default_config_static_selectorELNS0_4arch9wavefront6targetE1EEEvT1_, .Lfunc_end19-_ZN7rocprim17ROCPRIM_400000_NS6detail17trampoline_kernelINS0_14default_configENS1_25partition_config_selectorILNS1_17partition_subalgoE9EiibEEZZNS1_14partition_implILS5_9ELb0ES3_jPKiN6thrust23THRUST_200600_302600_NS17counting_iteratorIiNSB_11use_defaultESD_SD_EEPNS0_10empty_typeENS0_5tupleIJPiSF_EEENSH_IJSI_SG_EEENS0_18inequality_wrapperIN6hipcub16HIPCUB_304000_NS8EqualityEEEPlJSF_EEE10hipError_tPvRmT3_T4_T5_T6_T7_T9_mT8_P12ihipStream_tbDpT10_ENKUlT_T0_E_clISt17integral_constantIbLb1EES1A_EEDaS15_S16_EUlS15_E_NS1_11comp_targetILNS1_3genE5ELNS1_11target_archE942ELNS1_3gpuE9ELNS1_3repE0EEENS1_30default_config_static_selectorELNS0_4arch9wavefront6targetE1EEEvT1_
                                        ; -- End function
	.section	.AMDGPU.csdata,"",@progbits
; Kernel info:
; codeLenInByte = 0
; NumSgprs: 4
; NumVgprs: 0
; NumAgprs: 0
; TotalNumVgprs: 0
; ScratchSize: 0
; MemoryBound: 0
; FloatMode: 240
; IeeeMode: 1
; LDSByteSize: 0 bytes/workgroup (compile time only)
; SGPRBlocks: 0
; VGPRBlocks: 0
; NumSGPRsForWavesPerEU: 4
; NumVGPRsForWavesPerEU: 1
; AccumOffset: 4
; Occupancy: 8
; WaveLimiterHint : 0
; COMPUTE_PGM_RSRC2:SCRATCH_EN: 0
; COMPUTE_PGM_RSRC2:USER_SGPR: 6
; COMPUTE_PGM_RSRC2:TRAP_HANDLER: 0
; COMPUTE_PGM_RSRC2:TGID_X_EN: 1
; COMPUTE_PGM_RSRC2:TGID_Y_EN: 0
; COMPUTE_PGM_RSRC2:TGID_Z_EN: 0
; COMPUTE_PGM_RSRC2:TIDIG_COMP_CNT: 0
; COMPUTE_PGM_RSRC3_GFX90A:ACCUM_OFFSET: 0
; COMPUTE_PGM_RSRC3_GFX90A:TG_SPLIT: 0
	.section	.text._ZN7rocprim17ROCPRIM_400000_NS6detail17trampoline_kernelINS0_14default_configENS1_25partition_config_selectorILNS1_17partition_subalgoE9EiibEEZZNS1_14partition_implILS5_9ELb0ES3_jPKiN6thrust23THRUST_200600_302600_NS17counting_iteratorIiNSB_11use_defaultESD_SD_EEPNS0_10empty_typeENS0_5tupleIJPiSF_EEENSH_IJSI_SG_EEENS0_18inequality_wrapperIN6hipcub16HIPCUB_304000_NS8EqualityEEEPlJSF_EEE10hipError_tPvRmT3_T4_T5_T6_T7_T9_mT8_P12ihipStream_tbDpT10_ENKUlT_T0_E_clISt17integral_constantIbLb1EES1A_EEDaS15_S16_EUlS15_E_NS1_11comp_targetILNS1_3genE4ELNS1_11target_archE910ELNS1_3gpuE8ELNS1_3repE0EEENS1_30default_config_static_selectorELNS0_4arch9wavefront6targetE1EEEvT1_,"axG",@progbits,_ZN7rocprim17ROCPRIM_400000_NS6detail17trampoline_kernelINS0_14default_configENS1_25partition_config_selectorILNS1_17partition_subalgoE9EiibEEZZNS1_14partition_implILS5_9ELb0ES3_jPKiN6thrust23THRUST_200600_302600_NS17counting_iteratorIiNSB_11use_defaultESD_SD_EEPNS0_10empty_typeENS0_5tupleIJPiSF_EEENSH_IJSI_SG_EEENS0_18inequality_wrapperIN6hipcub16HIPCUB_304000_NS8EqualityEEEPlJSF_EEE10hipError_tPvRmT3_T4_T5_T6_T7_T9_mT8_P12ihipStream_tbDpT10_ENKUlT_T0_E_clISt17integral_constantIbLb1EES1A_EEDaS15_S16_EUlS15_E_NS1_11comp_targetILNS1_3genE4ELNS1_11target_archE910ELNS1_3gpuE8ELNS1_3repE0EEENS1_30default_config_static_selectorELNS0_4arch9wavefront6targetE1EEEvT1_,comdat
	.protected	_ZN7rocprim17ROCPRIM_400000_NS6detail17trampoline_kernelINS0_14default_configENS1_25partition_config_selectorILNS1_17partition_subalgoE9EiibEEZZNS1_14partition_implILS5_9ELb0ES3_jPKiN6thrust23THRUST_200600_302600_NS17counting_iteratorIiNSB_11use_defaultESD_SD_EEPNS0_10empty_typeENS0_5tupleIJPiSF_EEENSH_IJSI_SG_EEENS0_18inequality_wrapperIN6hipcub16HIPCUB_304000_NS8EqualityEEEPlJSF_EEE10hipError_tPvRmT3_T4_T5_T6_T7_T9_mT8_P12ihipStream_tbDpT10_ENKUlT_T0_E_clISt17integral_constantIbLb1EES1A_EEDaS15_S16_EUlS15_E_NS1_11comp_targetILNS1_3genE4ELNS1_11target_archE910ELNS1_3gpuE8ELNS1_3repE0EEENS1_30default_config_static_selectorELNS0_4arch9wavefront6targetE1EEEvT1_ ; -- Begin function _ZN7rocprim17ROCPRIM_400000_NS6detail17trampoline_kernelINS0_14default_configENS1_25partition_config_selectorILNS1_17partition_subalgoE9EiibEEZZNS1_14partition_implILS5_9ELb0ES3_jPKiN6thrust23THRUST_200600_302600_NS17counting_iteratorIiNSB_11use_defaultESD_SD_EEPNS0_10empty_typeENS0_5tupleIJPiSF_EEENSH_IJSI_SG_EEENS0_18inequality_wrapperIN6hipcub16HIPCUB_304000_NS8EqualityEEEPlJSF_EEE10hipError_tPvRmT3_T4_T5_T6_T7_T9_mT8_P12ihipStream_tbDpT10_ENKUlT_T0_E_clISt17integral_constantIbLb1EES1A_EEDaS15_S16_EUlS15_E_NS1_11comp_targetILNS1_3genE4ELNS1_11target_archE910ELNS1_3gpuE8ELNS1_3repE0EEENS1_30default_config_static_selectorELNS0_4arch9wavefront6targetE1EEEvT1_
	.globl	_ZN7rocprim17ROCPRIM_400000_NS6detail17trampoline_kernelINS0_14default_configENS1_25partition_config_selectorILNS1_17partition_subalgoE9EiibEEZZNS1_14partition_implILS5_9ELb0ES3_jPKiN6thrust23THRUST_200600_302600_NS17counting_iteratorIiNSB_11use_defaultESD_SD_EEPNS0_10empty_typeENS0_5tupleIJPiSF_EEENSH_IJSI_SG_EEENS0_18inequality_wrapperIN6hipcub16HIPCUB_304000_NS8EqualityEEEPlJSF_EEE10hipError_tPvRmT3_T4_T5_T6_T7_T9_mT8_P12ihipStream_tbDpT10_ENKUlT_T0_E_clISt17integral_constantIbLb1EES1A_EEDaS15_S16_EUlS15_E_NS1_11comp_targetILNS1_3genE4ELNS1_11target_archE910ELNS1_3gpuE8ELNS1_3repE0EEENS1_30default_config_static_selectorELNS0_4arch9wavefront6targetE1EEEvT1_
	.p2align	8
	.type	_ZN7rocprim17ROCPRIM_400000_NS6detail17trampoline_kernelINS0_14default_configENS1_25partition_config_selectorILNS1_17partition_subalgoE9EiibEEZZNS1_14partition_implILS5_9ELb0ES3_jPKiN6thrust23THRUST_200600_302600_NS17counting_iteratorIiNSB_11use_defaultESD_SD_EEPNS0_10empty_typeENS0_5tupleIJPiSF_EEENSH_IJSI_SG_EEENS0_18inequality_wrapperIN6hipcub16HIPCUB_304000_NS8EqualityEEEPlJSF_EEE10hipError_tPvRmT3_T4_T5_T6_T7_T9_mT8_P12ihipStream_tbDpT10_ENKUlT_T0_E_clISt17integral_constantIbLb1EES1A_EEDaS15_S16_EUlS15_E_NS1_11comp_targetILNS1_3genE4ELNS1_11target_archE910ELNS1_3gpuE8ELNS1_3repE0EEENS1_30default_config_static_selectorELNS0_4arch9wavefront6targetE1EEEvT1_,@function
_ZN7rocprim17ROCPRIM_400000_NS6detail17trampoline_kernelINS0_14default_configENS1_25partition_config_selectorILNS1_17partition_subalgoE9EiibEEZZNS1_14partition_implILS5_9ELb0ES3_jPKiN6thrust23THRUST_200600_302600_NS17counting_iteratorIiNSB_11use_defaultESD_SD_EEPNS0_10empty_typeENS0_5tupleIJPiSF_EEENSH_IJSI_SG_EEENS0_18inequality_wrapperIN6hipcub16HIPCUB_304000_NS8EqualityEEEPlJSF_EEE10hipError_tPvRmT3_T4_T5_T6_T7_T9_mT8_P12ihipStream_tbDpT10_ENKUlT_T0_E_clISt17integral_constantIbLb1EES1A_EEDaS15_S16_EUlS15_E_NS1_11comp_targetILNS1_3genE4ELNS1_11target_archE910ELNS1_3gpuE8ELNS1_3repE0EEENS1_30default_config_static_selectorELNS0_4arch9wavefront6targetE1EEEvT1_: ; @_ZN7rocprim17ROCPRIM_400000_NS6detail17trampoline_kernelINS0_14default_configENS1_25partition_config_selectorILNS1_17partition_subalgoE9EiibEEZZNS1_14partition_implILS5_9ELb0ES3_jPKiN6thrust23THRUST_200600_302600_NS17counting_iteratorIiNSB_11use_defaultESD_SD_EEPNS0_10empty_typeENS0_5tupleIJPiSF_EEENSH_IJSI_SG_EEENS0_18inequality_wrapperIN6hipcub16HIPCUB_304000_NS8EqualityEEEPlJSF_EEE10hipError_tPvRmT3_T4_T5_T6_T7_T9_mT8_P12ihipStream_tbDpT10_ENKUlT_T0_E_clISt17integral_constantIbLb1EES1A_EEDaS15_S16_EUlS15_E_NS1_11comp_targetILNS1_3genE4ELNS1_11target_archE910ELNS1_3gpuE8ELNS1_3repE0EEENS1_30default_config_static_selectorELNS0_4arch9wavefront6targetE1EEEvT1_
; %bb.0:
	s_load_dwordx4 s[20:23], s[4:5], 0x40
	s_load_dwordx2 s[6:7], s[4:5], 0x50
	s_load_dwordx2 s[30:31], s[4:5], 0x60
	v_cmp_ne_u32_e64 s[2:3], 0, v0
	v_cmp_eq_u32_e64 s[0:1], 0, v0
	s_and_saveexec_b64 s[8:9], s[0:1]
	s_cbranch_execz .LBB20_4
; %bb.1:
	s_mov_b64 s[12:13], exec
	v_mbcnt_lo_u32_b32 v1, s12, 0
	v_mbcnt_hi_u32_b32 v1, s13, v1
	v_cmp_eq_u32_e32 vcc, 0, v1
                                        ; implicit-def: $vgpr2
	s_and_saveexec_b64 s[10:11], vcc
	s_cbranch_execz .LBB20_3
; %bb.2:
	s_load_dwordx2 s[14:15], s[4:5], 0x70
	s_bcnt1_i32_b64 s12, s[12:13]
	v_mov_b32_e32 v2, 0
	v_mov_b32_e32 v3, s12
	s_waitcnt lgkmcnt(0)
	global_atomic_add v2, v2, v3, s[14:15] glc
.LBB20_3:
	s_or_b64 exec, exec, s[10:11]
	s_waitcnt vmcnt(0)
	v_readfirstlane_b32 s10, v2
	v_add_u32_e32 v1, s10, v1
	v_mov_b32_e32 v2, 0
	ds_write_b32 v2, v1
.LBB20_4:
	s_or_b64 exec, exec, s[8:9]
	v_mov_b32_e32 v1, 0
	s_load_dwordx4 s[8:11], s[4:5], 0x8
	s_load_dword s14, s[4:5], 0x18
	s_load_dwordx4 s[24:27], s[4:5], 0x28
	s_load_dword s15, s[4:5], 0x68
	s_waitcnt lgkmcnt(0)
	s_barrier
	ds_read_b32 v6, v1
	s_waitcnt lgkmcnt(0)
	s_barrier
	global_load_dwordx2 v[2:3], v1, s[22:23]
	s_lshl_b64 s[4:5], s[10:11], 2
	s_mul_i32 s16, s15, 0x540
	s_add_u32 s8, s8, s4
	s_addc_u32 s9, s9, s5
	s_add_i32 s4, s16, s10
	s_add_i32 s15, s15, -1
	s_sub_i32 s38, s6, s4
	s_add_u32 s4, s10, s16
	s_addc_u32 s5, s11, 0
	v_readfirstlane_b32 s33, v6
	v_mov_b32_e32 v4, s6
	v_mov_b32_e32 v5, s7
	s_cmp_eq_u32 s33, s15
	v_cmp_ge_u64_e32 vcc, s[4:5], v[4:5]
	s_cselect_b64 s[22:23], -1, 0
	s_mov_b32 s7, 0
	s_mul_i32 s6, s33, 0x540
	s_and_b64 s[16:17], vcc, s[22:23]
	s_lshl_b64 s[4:5], s[6:7], 2
	s_xor_b64 s[28:29], s[16:17], -1
	s_add_u32 s4, s8, s4
	s_mov_b64 s[12:13], -1
	s_addc_u32 s5, s9, s5
	s_and_b64 vcc, exec, s[28:29]
	s_waitcnt vmcnt(0)
	v_readfirstlane_b32 s18, v2
	v_readfirstlane_b32 s19, v3
	s_cbranch_vccz .LBB20_6
; %bb.5:
	v_lshlrev_b32_e32 v1, 2, v0
	v_mov_b32_e32 v2, s5
	v_add_co_u32_e32 v3, vcc, s4, v1
	v_addc_co_u32_e32 v4, vcc, 0, v2, vcc
	v_add_co_u32_e32 v2, vcc, 0x1000, v3
	v_addc_co_u32_e32 v3, vcc, 0, v4, vcc
	global_load_dword v4, v1, s[4:5]
	global_load_dword v5, v1, s[4:5] offset:768
	global_load_dword v6, v1, s[4:5] offset:1536
	;; [unrolled: 1-line block ×5, first 2 shown]
	global_load_dword v10, v[2:3], off offset:512
	s_mov_b64 s[12:13], 0
	s_waitcnt vmcnt(5)
	ds_write2st64_b32 v1, v4, v5 offset1:3
	s_waitcnt vmcnt(3)
	ds_write2st64_b32 v1, v6, v7 offset0:6 offset1:9
	s_waitcnt vmcnt(1)
	ds_write2st64_b32 v1, v8, v9 offset0:12 offset1:15
	s_waitcnt vmcnt(0)
	ds_write_b32 v1, v10 offset:4608
	s_waitcnt lgkmcnt(0)
	s_barrier
.LBB20_6:
	s_andn2_b64 vcc, exec, s[12:13]
	s_addk_i32 s38, 0x540
	s_cbranch_vccnz .LBB20_22
; %bb.7:
	v_cmp_gt_u32_e32 vcc, s38, v0
                                        ; implicit-def: $vgpr2_vgpr3_vgpr4_vgpr5_vgpr6_vgpr7_vgpr8
	s_and_saveexec_b64 s[8:9], vcc
	s_cbranch_execz .LBB20_9
; %bb.8:
	v_lshlrev_b32_e32 v1, 2, v0
	global_load_dword v2, v1, s[4:5]
.LBB20_9:
	s_or_b64 exec, exec, s[8:9]
	v_add_u32_e32 v1, 0xc0, v0
	v_cmp_gt_u32_e32 vcc, s38, v1
	s_and_saveexec_b64 s[8:9], vcc
	s_cbranch_execz .LBB20_11
; %bb.10:
	v_lshlrev_b32_e32 v1, 2, v0
	global_load_dword v3, v1, s[4:5] offset:768
.LBB20_11:
	s_or_b64 exec, exec, s[8:9]
	v_add_u32_e32 v1, 0x180, v0
	v_cmp_gt_u32_e32 vcc, s38, v1
	s_and_saveexec_b64 s[8:9], vcc
	s_cbranch_execz .LBB20_13
; %bb.12:
	v_lshlrev_b32_e32 v1, 2, v0
	global_load_dword v4, v1, s[4:5] offset:1536
.LBB20_13:
	;; [unrolled: 9-line block ×3, first 2 shown]
	s_or_b64 exec, exec, s[8:9]
	v_or_b32_e32 v1, 0x300, v0
	v_cmp_gt_u32_e32 vcc, s38, v1
	s_and_saveexec_b64 s[8:9], vcc
	s_cbranch_execz .LBB20_17
; %bb.16:
	v_lshlrev_b32_e32 v1, 2, v0
	global_load_dword v6, v1, s[4:5] offset:3072
.LBB20_17:
	s_or_b64 exec, exec, s[8:9]
	v_add_u32_e32 v1, 0x3c0, v0
	v_cmp_gt_u32_e32 vcc, s38, v1
	s_and_saveexec_b64 s[8:9], vcc
	s_cbranch_execz .LBB20_19
; %bb.18:
	v_lshlrev_b32_e32 v1, 2, v0
	global_load_dword v7, v1, s[4:5] offset:3840
.LBB20_19:
	s_or_b64 exec, exec, s[8:9]
	v_add_u32_e32 v1, 0x480, v0
	v_cmp_gt_u32_e32 vcc, s38, v1
	s_and_saveexec_b64 s[8:9], vcc
	s_cbranch_execz .LBB20_21
; %bb.20:
	v_lshlrev_b32_e32 v1, 2, v1
	global_load_dword v8, v1, s[4:5]
.LBB20_21:
	s_or_b64 exec, exec, s[8:9]
	v_lshlrev_b32_e32 v1, 2, v0
	s_waitcnt vmcnt(0)
	ds_write2st64_b32 v1, v2, v3 offset1:3
	ds_write2st64_b32 v1, v4, v5 offset0:6 offset1:9
	ds_write2st64_b32 v1, v6, v7 offset0:12 offset1:15
	ds_write_b32 v1, v8 offset:4608
	s_waitcnt lgkmcnt(0)
	s_barrier
.LBB20_22:
	v_mul_u32_u24_e32 v16, 7, v0
	v_lshlrev_b32_e32 v8, 2, v16
	ds_read2_b32 v[14:15], v8 offset1:1
	ds_read2_b32 v[12:13], v8 offset0:2 offset1:3
	ds_read2_b32 v[10:11], v8 offset0:4 offset1:5
	ds_read_b32 v34, v8 offset:24
	s_add_i32 s7, s14, s10
	s_add_i32 s7, s7, s6
	v_add_u32_e32 v1, s7, v0
	s_mov_b64 s[6:7], -1
	s_and_b64 vcc, exec, s[28:29]
	s_waitcnt lgkmcnt(0)
	s_barrier
	s_cbranch_vccz .LBB20_24
; %bb.23:
	v_add_u32_e32 v2, 0xc0, v1
	v_lshlrev_b32_e32 v9, 2, v0
	v_add_u32_e32 v3, 0x180, v1
	v_add_u32_e32 v4, 0x240, v1
	;; [unrolled: 1-line block ×5, first 2 shown]
	ds_write2st64_b32 v9, v1, v2 offset1:3
	ds_write2st64_b32 v9, v3, v4 offset0:6 offset1:9
	ds_write2st64_b32 v9, v5, v6 offset0:12 offset1:15
	ds_write_b32 v9, v7 offset:4608
	s_waitcnt lgkmcnt(0)
	s_barrier
	s_mov_b64 s[6:7], 0
.LBB20_24:
	s_andn2_b64 vcc, exec, s[6:7]
	s_cbranch_vccnz .LBB20_26
; %bb.25:
	s_movk_i32 s6, 0xffe8
	v_add_u32_e32 v2, 0xc0, v1
	v_mad_i32_i24 v9, v0, s6, v8
	v_add_u32_e32 v3, 0x180, v1
	v_add_u32_e32 v4, 0x240, v1
	;; [unrolled: 1-line block ×5, first 2 shown]
	ds_write2st64_b32 v9, v1, v2 offset1:3
	ds_write2st64_b32 v9, v3, v4 offset0:6 offset1:9
	ds_write2st64_b32 v9, v5, v6 offset0:12 offset1:15
	ds_write_b32 v9, v7 offset:4608
	s_waitcnt lgkmcnt(0)
	s_barrier
.LBB20_26:
	ds_read2_b32 v[6:7], v8 offset1:1
	ds_read2_b32 v[4:5], v8 offset0:2 offset1:3
	ds_read2_b32 v[2:3], v8 offset0:4 offset1:5
	ds_read_b32 v1, v8 offset:24
	s_cmp_lg_u32 s33, 0
	s_cselect_b64 s[34:35], -1, 0
	s_cmp_lg_u64 s[10:11], 0
	s_cselect_b64 s[6:7], -1, 0
	s_or_b64 s[6:7], s[6:7], s[34:35]
	v_add_u32_e32 v22, 1, v16
	v_add_u32_e32 v21, 2, v16
	;; [unrolled: 1-line block ×6, first 2 shown]
	s_mov_b64 s[36:37], 0
	s_and_b64 vcc, exec, s[6:7]
	s_waitcnt lgkmcnt(0)
	s_barrier
	s_cbranch_vccz .LBB20_31
; %bb.27:
	v_mov_b32_e32 v9, 0
	global_load_dword v9, v9, s[4:5] offset:-4
	v_lshlrev_b32_e32 v27, 2, v0
	s_and_b64 vcc, exec, s[28:29]
	ds_write_b32 v27, v34
	s_cbranch_vccz .LBB20_33
; %bb.28:
	s_waitcnt vmcnt(0)
	v_mov_b32_e32 v26, v9
	s_waitcnt lgkmcnt(0)
	s_barrier
	s_and_saveexec_b64 s[4:5], s[2:3]
	s_cbranch_execz .LBB20_30
; %bb.29:
	v_add_u32_e32 v23, -4, v27
	ds_read_b32 v26, v23
.LBB20_30:
	s_or_b64 exec, exec, s[4:5]
	v_cmp_ne_u32_e32 vcc, v11, v34
	v_cndmask_b32_e64 v25, 0, 1, vcc
	v_cmp_ne_u32_e32 vcc, v10, v11
	v_cndmask_b32_e64 v23, 0, 1, vcc
	;; [unrolled: 2-line block ×6, first 2 shown]
	s_waitcnt lgkmcnt(0)
	v_cmp_ne_u32_e64 s[4:5], v26, v14
	v_lshlrev_b16_e32 v26, 8, v28
	v_or_b32_sdwa v26, v29, v26 dst_sel:WORD_1 dst_unused:UNUSED_PAD src0_sel:DWORD src1_sel:DWORD
	v_lshlrev_b16_e32 v28, 8, v30
	v_or_b32_e32 v26, v28, v26
	s_branch .LBB20_37
.LBB20_31:
                                        ; implicit-def: $sgpr4_sgpr5
                                        ; implicit-def: $vgpr25
                                        ; implicit-def: $vgpr23
                                        ; implicit-def: $vgpr24
                                        ; implicit-def: $vgpr26
	s_branch .LBB20_38
.LBB20_32:
                                        ; implicit-def: $vgpr8_vgpr9
	s_and_saveexec_b64 s[2:3], s[36:37]
	s_cbranch_execnz .LBB20_46
	s_branch .LBB20_47
.LBB20_33:
                                        ; implicit-def: $sgpr4_sgpr5
                                        ; implicit-def: $vgpr25
                                        ; implicit-def: $vgpr23
                                        ; implicit-def: $vgpr24
                                        ; implicit-def: $vgpr26
	s_cbranch_execz .LBB20_37
; %bb.34:
	s_waitcnt lgkmcnt(0)
	s_barrier
	s_and_saveexec_b64 s[4:5], s[2:3]
	s_cbranch_execz .LBB20_36
; %bb.35:
	s_waitcnt vmcnt(0)
	v_add_u32_e32 v9, -4, v27
	ds_read_b32 v9, v9
.LBB20_36:
	s_or_b64 exec, exec, s[4:5]
	v_cmp_gt_u32_e32 vcc, s38, v17
	v_cmp_ne_u32_e64 s[4:5], v11, v34
	s_and_b64 s[4:5], vcc, s[4:5]
	v_cndmask_b32_e64 v25, 0, 1, s[4:5]
	v_cmp_gt_u32_e32 vcc, s38, v18
	v_cmp_ne_u32_e64 s[4:5], v10, v11
	s_and_b64 s[4:5], vcc, s[4:5]
	v_cndmask_b32_e64 v23, 0, 1, s[4:5]
	;; [unrolled: 4-line block ×6, first 2 shown]
	s_waitcnt vmcnt(0) lgkmcnt(0)
	v_cmp_ne_u32_e64 s[4:5], v9, v14
	v_lshlrev_b16_e32 v9, 8, v26
	v_cmp_gt_u32_e32 vcc, s38, v16
	v_or_b32_sdwa v9, v27, v9 dst_sel:WORD_1 dst_unused:UNUSED_PAD src0_sel:DWORD src1_sel:DWORD
	v_lshlrev_b16_e32 v26, 8, v28
	s_and_b64 s[4:5], vcc, s[4:5]
	v_or_b32_e32 v26, v26, v9
.LBB20_37:
	s_mov_b64 s[36:37], -1
	s_cbranch_execnz .LBB20_32
.LBB20_38:
	s_movk_i32 s4, 0xffe8
	v_mad_i32_i24 v27, v0, s4, v8
	s_and_b64 vcc, exec, s[28:29]
	v_cmp_ne_u32_e64 s[4:5], v11, v34
	v_cmp_ne_u32_e64 s[6:7], v10, v11
	;; [unrolled: 1-line block ×6, first 2 shown]
	ds_write_b32 v27, v34
	s_cbranch_vccz .LBB20_42
; %bb.39:
	v_cndmask_b32_e64 v23, 0, 1, s[6:7]
	v_cndmask_b32_e64 v8, 0, 1, s[10:11]
	;; [unrolled: 1-line block ×5, first 2 shown]
	s_waitcnt vmcnt(0)
	v_lshlrev_b16_e32 v9, 8, v23
	v_lshlrev_b16_e32 v8, 8, v8
	v_or_b32_e32 v9, v24, v9
	v_or_b32_sdwa v8, v26, v8 dst_sel:WORD_1 dst_unused:UNUSED_PAD src0_sel:DWORD src1_sel:DWORD
	v_lshlrev_b16_e32 v26, 8, v28
	v_and_b32_e32 v9, 0xffff, v9
	v_cndmask_b32_e64 v25, 0, 1, s[4:5]
	v_or_b32_e32 v26, 1, v26
	v_lshl_or_b32 v9, v25, 16, v9
	v_or_b32_sdwa v8, v26, v8 dst_sel:DWORD dst_unused:UNUSED_PAD src0_sel:WORD_0 src1_sel:DWORD
	s_waitcnt lgkmcnt(0)
	s_barrier
	s_waitcnt lgkmcnt(0)
                                        ; implicit-def: $sgpr4_sgpr5
                                        ; implicit-def: $vgpr26
	s_and_saveexec_b64 s[6:7], s[2:3]
	s_xor_b64 s[6:7], exec, s[6:7]
	s_cbranch_execz .LBB20_41
; %bb.40:
	v_add_u32_e32 v9, -4, v27
	ds_read_b32 v9, v9
	s_mov_b32 s4, 0x3020104
	v_perm_b32 v26, v8, v8, s4
	s_or_b64 s[36:37], s[36:37], exec
	s_waitcnt lgkmcnt(0)
	v_cmp_ne_u32_e32 vcc, v9, v14
	s_and_b64 s[4:5], vcc, exec
                                        ; implicit-def: $vgpr8_vgpr9
.LBB20_41:
	s_or_b64 exec, exec, s[6:7]
	s_branch .LBB20_45
.LBB20_42:
                                        ; implicit-def: $sgpr4_sgpr5
                                        ; implicit-def: $vgpr25
                                        ; implicit-def: $vgpr23
                                        ; implicit-def: $vgpr24
                                        ; implicit-def: $vgpr26
                                        ; implicit-def: $vgpr8_vgpr9
	s_cbranch_execz .LBB20_45
; %bb.43:
	v_cmp_gt_u32_e64 s[6:7], s38, v18
	v_cmp_ne_u32_e64 s[8:9], v10, v11
	s_and_b64 s[6:7], s[6:7], s[8:9]
	v_cndmask_b32_e64 v23, 0, 1, s[6:7]
	v_cmp_gt_u32_e64 s[6:7], s38, v19
	v_cmp_ne_u32_e64 s[8:9], v13, v10
	s_and_b64 s[6:7], s[6:7], s[8:9]
	v_cndmask_b32_e64 v24, 0, 1, s[6:7]
	;; [unrolled: 4-line block ×4, first 2 shown]
	v_cmp_gt_u32_e64 s[6:7], s38, v22
	v_cmp_ne_u32_e64 s[8:9], v14, v15
	s_and_b64 s[6:7], s[6:7], s[8:9]
	v_cmp_gt_u32_e32 vcc, s38, v17
	v_cmp_ne_u32_e64 s[4:5], v11, v34
	v_cndmask_b32_e64 v28, 0, 1, s[6:7]
	s_waitcnt vmcnt(0)
	v_lshlrev_b16_e32 v9, 8, v23
	v_lshlrev_b16_e32 v8, 8, v8
	v_or_b32_e32 v9, v24, v9
	s_and_b64 s[4:5], vcc, s[4:5]
	v_or_b32_sdwa v8, v26, v8 dst_sel:WORD_1 dst_unused:UNUSED_PAD src0_sel:DWORD src1_sel:DWORD
	v_lshlrev_b16_e32 v26, 8, v28
	v_and_b32_e32 v9, 0xffff, v9
	v_cndmask_b32_e64 v25, 0, 1, s[4:5]
	v_or_b32_e32 v26, 1, v26
	v_lshl_or_b32 v9, v25, 16, v9
	v_or_b32_sdwa v8, v26, v8 dst_sel:DWORD dst_unused:UNUSED_PAD src0_sel:WORD_0 src1_sel:DWORD
	s_waitcnt lgkmcnt(0)
	s_barrier
	s_waitcnt lgkmcnt(0)
                                        ; implicit-def: $sgpr4_sgpr5
                                        ; implicit-def: $vgpr26
	s_and_saveexec_b64 s[6:7], s[2:3]
	s_cbranch_execz .LBB20_177
; %bb.44:
	v_add_u32_e32 v9, -4, v27
	ds_read_b32 v9, v9
	s_mov_b32 s2, 0x3020104
	v_cmp_gt_u32_e32 vcc, s38, v16
	v_perm_b32 v26, v8, v8, s2
	s_or_b64 s[36:37], s[36:37], exec
	s_waitcnt lgkmcnt(0)
	v_cmp_ne_u32_e64 s[2:3], v9, v14
	s_and_b64 s[2:3], vcc, s[2:3]
	s_and_b64 s[4:5], s[2:3], exec
                                        ; implicit-def: $vgpr8_vgpr9
	s_or_b64 exec, exec, s[6:7]
.LBB20_45:
	s_and_saveexec_b64 s[2:3], s[36:37]
	s_cbranch_execz .LBB20_47
.LBB20_46:
	s_waitcnt vmcnt(0)
	v_lshlrev_b16_e32 v9, 8, v23
	v_and_b32_e32 v23, 0xff, v25
	v_or_b32_sdwa v9, v24, v9 dst_sel:DWORD dst_unused:UNUSED_PAD src0_sel:BYTE_0 src1_sel:DWORD
	v_lshlrev_b32_e32 v23, 16, v23
	v_cndmask_b32_e64 v8, 0, 1, s[4:5]
	s_movk_i32 s4, 0xff
	v_or_b32_sdwa v9, v9, v23 dst_sel:DWORD dst_unused:UNUSED_PAD src0_sel:WORD_0 src1_sel:DWORD
	v_lshrrev_b32_e32 v23, 24, v26
	v_lshlrev_b16_e32 v23, 8, v23
	v_and_b32_sdwa v24, v26, s4 dst_sel:DWORD dst_unused:UNUSED_PAD src0_sel:WORD_1 src1_sel:DWORD
	v_or_b32_sdwa v23, v24, v23 dst_sel:WORD_1 dst_unused:UNUSED_PAD src0_sel:DWORD src1_sel:DWORD
	v_mov_b32_e32 v24, 8
	v_lshrrev_b32_sdwa v24, v24, v26 dst_sel:BYTE_1 dst_unused:UNUSED_PAD src0_sel:DWORD src1_sel:DWORD
	v_or_b32_e32 v8, v8, v24
	v_or_b32_sdwa v8, v8, v23 dst_sel:DWORD dst_unused:UNUSED_PAD src0_sel:WORD_0 src1_sel:DWORD
.LBB20_47:
	s_or_b64 exec, exec, s[2:3]
	s_andn2_b64 vcc, exec, s[16:17]
	s_cbranch_vccnz .LBB20_49
; %bb.48:
	v_and_b32_e32 v23, 0xffff0000, v8
	v_cmp_gt_u32_e32 vcc, s38, v16
	v_cndmask_b32_e32 v16, v23, v8, vcc
	v_and_b32_e32 v16, 0xffff00ff, v16
	v_cmp_gt_u32_e32 vcc, s38, v22
	v_cndmask_b32_e32 v16, v16, v8, vcc
	v_lshrrev_b32_e32 v22, 24, v16
	s_mov_b32 s2, 0x40c0100
	v_perm_b32 v16, v22, v16, s2
	v_cmp_gt_u32_e32 vcc, s38, v21
	v_cndmask_b32_e32 v16, v16, v8, vcc
	v_and_b32_e32 v16, 0xffffff, v16
	v_cmp_gt_u32_e32 vcc, s38, v20
	v_cndmask_b32_e32 v16, v16, v8, vcc
	s_waitcnt vmcnt(0)
	v_and_b32_e32 v20, 0xffffff00, v9
	v_cmp_gt_u32_e32 vcc, s38, v19
	v_cndmask_b32_e32 v19, v20, v9, vcc
	v_and_b32_e32 v19, 0xffff00ff, v19
	v_cndmask_b32_e32 v16, v16, v8, vcc
	v_cmp_gt_u32_e32 vcc, s38, v18
	v_cndmask_b32_e32 v18, v19, v9, vcc
	v_lshrrev_b32_e32 v19, 24, v18
	v_cndmask_b32_e32 v16, v16, v8, vcc
	v_perm_b32 v18, v19, v18, s2
	v_cmp_gt_u32_e32 vcc, s38, v17
	v_cndmask_b32_e32 v8, v16, v8, vcc
	v_cndmask_b32_e32 v9, v18, v9, vcc
	v_mov_b32_e32 v16, 8
	v_lshrrev_b32_sdwa v16, v16, v9 dst_sel:BYTE_1 dst_unused:UNUSED_PAD src0_sel:DWORD src1_sel:DWORD
	v_or_b32_sdwa v16, v9, v16 dst_sel:DWORD dst_unused:UNUSED_PAD src0_sel:BYTE_0 src1_sel:DWORD
	v_and_b32_e32 v16, 0xffff, v16
	v_bfe_u32 v9, v9, 16, 8
	s_mov_b32 s2, 0x3020104
	v_lshl_or_b32 v9, v9, 16, v16
	v_perm_b32 v8, v8, v8, s2
.LBB20_49:
	v_and_b32_e32 v27, 0xff, v8
	v_bfe_u32 v29, v8, 8, 8
	v_bfe_u32 v31, v8, 16, 8
	s_waitcnt vmcnt(0)
	v_alignbit_b32 v16, v9, v8, 24
	v_and_b32_e32 v33, 0xff, v16
	v_and_b32_e32 v35, 0xff, v9
	v_add3_u32 v17, v29, v27, v31
	v_bfe_u32 v36, v9, 8, 8
	v_bfe_u32 v16, v9, 16, 8
	v_add3_u32 v17, v17, v33, v35
	v_add3_u32 v39, v17, v36, v16
	v_mbcnt_lo_u32_b32 v16, -1, 0
	v_mbcnt_hi_u32_b32 v37, -1, v16
	v_and_b32_e32 v16, 15, v37
	v_cmp_eq_u32_e64 s[14:15], 0, v16
	v_cmp_lt_u32_e64 s[12:13], 1, v16
	v_cmp_lt_u32_e64 s[10:11], 3, v16
	;; [unrolled: 1-line block ×3, first 2 shown]
	v_and_b32_e32 v16, 16, v37
	v_cmp_eq_u32_e64 s[4:5], 0, v16
	v_and_b32_e32 v16, 0xc0, v0
	v_min_u32_e32 v16, 0x80, v16
	v_or_b32_e32 v16, 63, v16
	v_cmp_lt_u32_e64 s[2:3], 31, v37
	v_lshrrev_b32_e32 v38, 6, v0
	v_cmp_eq_u32_e64 s[6:7], v16, v0
	s_and_b64 vcc, exec, s[34:35]
	s_waitcnt lgkmcnt(0)
	s_barrier
	s_cbranch_vccz .LBB20_80
; %bb.50:
	v_mov_b32_dpp v16, v39 row_shr:1 row_mask:0xf bank_mask:0xf
	v_cndmask_b32_e64 v16, v16, 0, s[14:15]
	v_add_u32_e32 v16, v16, v39
	s_nop 1
	v_mov_b32_dpp v17, v16 row_shr:2 row_mask:0xf bank_mask:0xf
	v_cndmask_b32_e64 v17, 0, v17, s[12:13]
	v_add_u32_e32 v16, v16, v17
	s_nop 1
	;; [unrolled: 4-line block ×4, first 2 shown]
	v_mov_b32_dpp v17, v16 row_bcast:15 row_mask:0xf bank_mask:0xf
	v_cndmask_b32_e64 v17, v17, 0, s[4:5]
	v_add_u32_e32 v16, v16, v17
	s_nop 1
	v_mov_b32_dpp v17, v16 row_bcast:31 row_mask:0xf bank_mask:0xf
	v_cndmask_b32_e64 v17, 0, v17, s[2:3]
	v_add_u32_e32 v16, v16, v17
	s_and_saveexec_b64 s[16:17], s[6:7]
	s_cbranch_execz .LBB20_52
; %bb.51:
	v_lshlrev_b32_e32 v17, 2, v38
	ds_write_b32 v17, v16
.LBB20_52:
	s_or_b64 exec, exec, s[16:17]
	v_cmp_gt_u32_e32 vcc, 3, v0
	s_waitcnt lgkmcnt(0)
	s_barrier
	s_and_saveexec_b64 s[16:17], vcc
	s_cbranch_execz .LBB20_54
; %bb.53:
	v_lshlrev_b32_e32 v17, 2, v0
	ds_read_b32 v18, v17
	v_and_b32_e32 v19, 3, v37
	v_cmp_ne_u32_e32 vcc, 0, v19
	s_waitcnt lgkmcnt(0)
	v_mov_b32_dpp v20, v18 row_shr:1 row_mask:0xf bank_mask:0xf
	v_cndmask_b32_e32 v20, 0, v20, vcc
	v_add_u32_e32 v18, v20, v18
	v_cmp_lt_u32_e32 vcc, 1, v19
	s_nop 0
	v_mov_b32_dpp v20, v18 row_shr:2 row_mask:0xf bank_mask:0xf
	v_cndmask_b32_e32 v19, 0, v20, vcc
	v_add_u32_e32 v18, v18, v19
	ds_write_b32 v17, v18
.LBB20_54:
	s_or_b64 exec, exec, s[16:17]
	v_cmp_gt_u32_e32 vcc, 64, v0
	v_cmp_lt_u32_e64 s[16:17], 63, v0
	s_waitcnt lgkmcnt(0)
	s_barrier
	s_waitcnt lgkmcnt(0)
                                        ; implicit-def: $vgpr26
	s_and_saveexec_b64 s[34:35], s[16:17]
	s_cbranch_execz .LBB20_56
; %bb.55:
	v_lshl_add_u32 v17, v38, 2, -4
	ds_read_b32 v26, v17
	s_waitcnt lgkmcnt(0)
	v_add_u32_e32 v16, v26, v16
.LBB20_56:
	s_or_b64 exec, exec, s[34:35]
	v_add_u32_e32 v17, -1, v37
	v_and_b32_e32 v18, 64, v37
	v_cmp_lt_i32_e64 s[16:17], v17, v18
	v_cndmask_b32_e64 v17, v17, v37, s[16:17]
	v_lshlrev_b32_e32 v17, 2, v17
	ds_bpermute_b32 v28, v17, v16
	v_cmp_eq_u32_e64 s[16:17], 0, v37
	s_and_saveexec_b64 s[34:35], vcc
	s_cbranch_execz .LBB20_79
; %bb.57:
	v_mov_b32_e32 v25, 0
	ds_read_b32 v16, v25 offset:8
	s_and_saveexec_b64 s[36:37], s[16:17]
	s_cbranch_execz .LBB20_59
; %bb.58:
	s_add_i32 s38, s33, 64
	s_mov_b32 s39, 0
	s_lshl_b64 s[38:39], s[38:39], 3
	s_add_u32 s38, s30, s38
	v_mov_b32_e32 v17, 1
	s_addc_u32 s39, s31, s39
	s_waitcnt lgkmcnt(0)
	global_store_dwordx2 v25, v[16:17], s[38:39]
.LBB20_59:
	s_or_b64 exec, exec, s[36:37]
	v_xad_u32 v18, v37, -1, s33
	v_add_u32_e32 v24, 64, v18
	v_lshlrev_b64 v[20:21], 3, v[24:25]
	v_mov_b32_e32 v17, s31
	v_add_co_u32_e32 v20, vcc, s30, v20
	v_addc_co_u32_e32 v21, vcc, v17, v21, vcc
	global_load_dwordx2 v[22:23], v[20:21], off glc
	s_waitcnt vmcnt(0)
	v_cmp_eq_u16_sdwa s[38:39], v23, v25 src0_sel:BYTE_0 src1_sel:DWORD
	s_and_saveexec_b64 s[36:37], s[38:39]
	s_cbranch_execz .LBB20_65
; %bb.60:
	s_mov_b32 s40, 1
	s_mov_b64 s[38:39], 0
	v_mov_b32_e32 v17, 0
.LBB20_61:                              ; =>This Loop Header: Depth=1
                                        ;     Child Loop BB20_62 Depth 2
	s_max_u32 s41, s40, 1
.LBB20_62:                              ;   Parent Loop BB20_61 Depth=1
                                        ; =>  This Inner Loop Header: Depth=2
	s_add_i32 s41, s41, -1
	s_cmp_eq_u32 s41, 0
	s_sleep 1
	s_cbranch_scc0 .LBB20_62
; %bb.63:                               ;   in Loop: Header=BB20_61 Depth=1
	global_load_dwordx2 v[22:23], v[20:21], off glc
	s_cmp_lt_u32 s40, 32
	s_cselect_b64 s[42:43], -1, 0
	s_cmp_lg_u64 s[42:43], 0
	s_addc_u32 s40, s40, 0
	s_waitcnt vmcnt(0)
	v_cmp_ne_u16_sdwa s[42:43], v23, v17 src0_sel:BYTE_0 src1_sel:DWORD
	s_or_b64 s[38:39], s[42:43], s[38:39]
	s_andn2_b64 exec, exec, s[38:39]
	s_cbranch_execnz .LBB20_61
; %bb.64:
	s_or_b64 exec, exec, s[38:39]
.LBB20_65:
	s_or_b64 exec, exec, s[36:37]
	v_and_b32_e32 v32, 63, v37
	v_mov_b32_e32 v30, 2
	v_cmp_ne_u32_e32 vcc, 63, v32
	v_cmp_eq_u16_sdwa s[36:37], v23, v30 src0_sel:BYTE_0 src1_sel:DWORD
	v_lshlrev_b64 v[20:21], v37, -1
	v_addc_co_u32_e32 v24, vcc, 0, v37, vcc
	v_and_b32_e32 v17, s37, v21
	v_lshlrev_b32_e32 v40, 2, v24
	v_or_b32_e32 v17, 0x80000000, v17
	ds_bpermute_b32 v24, v40, v22
	v_and_b32_e32 v19, s36, v20
	v_ffbl_b32_e32 v17, v17
	v_add_u32_e32 v17, 32, v17
	v_ffbl_b32_e32 v19, v19
	v_min_u32_e32 v17, v19, v17
	v_cmp_lt_u32_e32 vcc, v32, v17
	s_waitcnt lgkmcnt(0)
	v_cndmask_b32_e32 v19, 0, v24, vcc
	v_cmp_gt_u32_e32 vcc, 62, v32
	v_add_u32_e32 v19, v19, v22
	v_cndmask_b32_e64 v22, 0, 1, vcc
	v_lshlrev_b32_e32 v22, 1, v22
	v_add_lshl_u32 v41, v22, v37, 2
	ds_bpermute_b32 v22, v41, v19
	v_add_u32_e32 v42, 2, v32
	v_cmp_le_u32_e32 vcc, v42, v17
	v_add_u32_e32 v44, 4, v32
	v_add_u32_e32 v46, 8, v32
	s_waitcnt lgkmcnt(0)
	v_cndmask_b32_e32 v22, 0, v22, vcc
	v_cmp_gt_u32_e32 vcc, 60, v32
	v_add_u32_e32 v19, v19, v22
	v_cndmask_b32_e64 v22, 0, 1, vcc
	v_lshlrev_b32_e32 v22, 2, v22
	v_add_lshl_u32 v43, v22, v37, 2
	ds_bpermute_b32 v22, v43, v19
	v_cmp_le_u32_e32 vcc, v44, v17
	v_add_u32_e32 v48, 16, v32
	v_add_u32_e32 v50, 32, v32
	s_waitcnt lgkmcnt(0)
	v_cndmask_b32_e32 v22, 0, v22, vcc
	v_cmp_gt_u32_e32 vcc, 56, v32
	v_add_u32_e32 v19, v19, v22
	v_cndmask_b32_e64 v22, 0, 1, vcc
	v_lshlrev_b32_e32 v22, 3, v22
	v_add_lshl_u32 v45, v22, v37, 2
	ds_bpermute_b32 v22, v45, v19
	v_cmp_le_u32_e32 vcc, v46, v17
	s_waitcnt lgkmcnt(0)
	v_cndmask_b32_e32 v22, 0, v22, vcc
	v_cmp_gt_u32_e32 vcc, 48, v32
	v_add_u32_e32 v19, v19, v22
	v_cndmask_b32_e64 v22, 0, 1, vcc
	v_lshlrev_b32_e32 v22, 4, v22
	v_add_lshl_u32 v47, v22, v37, 2
	ds_bpermute_b32 v22, v47, v19
	v_cmp_le_u32_e32 vcc, v48, v17
	;; [unrolled: 9-line block ×3, first 2 shown]
	s_waitcnt lgkmcnt(0)
	v_cndmask_b32_e32 v17, 0, v22, vcc
	v_add_u32_e32 v22, v19, v17
	v_mov_b32_e32 v19, 0
	s_branch .LBB20_67
.LBB20_66:                              ;   in Loop: Header=BB20_67 Depth=1
	s_or_b64 exec, exec, s[36:37]
	v_cmp_eq_u16_sdwa s[36:37], v23, v30 src0_sel:BYTE_0 src1_sel:DWORD
	v_and_b32_e32 v24, s37, v21
	v_or_b32_e32 v24, 0x80000000, v24
	ds_bpermute_b32 v51, v40, v22
	v_and_b32_e32 v25, s36, v20
	v_ffbl_b32_e32 v24, v24
	v_add_u32_e32 v24, 32, v24
	v_ffbl_b32_e32 v25, v25
	v_min_u32_e32 v24, v25, v24
	v_cmp_lt_u32_e32 vcc, v32, v24
	s_waitcnt lgkmcnt(0)
	v_cndmask_b32_e32 v25, 0, v51, vcc
	v_add_u32_e32 v22, v25, v22
	ds_bpermute_b32 v25, v41, v22
	v_cmp_le_u32_e32 vcc, v42, v24
	v_subrev_u32_e32 v18, 64, v18
	s_waitcnt lgkmcnt(0)
	v_cndmask_b32_e32 v25, 0, v25, vcc
	v_add_u32_e32 v22, v22, v25
	ds_bpermute_b32 v25, v43, v22
	v_cmp_le_u32_e32 vcc, v44, v24
	s_waitcnt lgkmcnt(0)
	v_cndmask_b32_e32 v25, 0, v25, vcc
	v_add_u32_e32 v22, v22, v25
	ds_bpermute_b32 v25, v45, v22
	v_cmp_le_u32_e32 vcc, v46, v24
	;; [unrolled: 5-line block ×4, first 2 shown]
	s_waitcnt lgkmcnt(0)
	v_cndmask_b32_e32 v24, 0, v25, vcc
	v_add3_u32 v22, v24, v17, v22
.LBB20_67:                              ; =>This Loop Header: Depth=1
                                        ;     Child Loop BB20_70 Depth 2
                                        ;       Child Loop BB20_71 Depth 3
	v_cmp_ne_u16_sdwa s[36:37], v23, v30 src0_sel:BYTE_0 src1_sel:DWORD
	v_cndmask_b32_e64 v17, 0, 1, s[36:37]
	;;#ASMSTART
	;;#ASMEND
	v_cmp_ne_u32_e32 vcc, 0, v17
	s_cmp_lg_u64 vcc, exec
	v_mov_b32_e32 v17, v22
	s_cbranch_scc1 .LBB20_74
; %bb.68:                               ;   in Loop: Header=BB20_67 Depth=1
	v_lshlrev_b64 v[22:23], 3, v[18:19]
	v_mov_b32_e32 v25, s31
	v_add_co_u32_e32 v24, vcc, s30, v22
	v_addc_co_u32_e32 v25, vcc, v25, v23, vcc
	global_load_dwordx2 v[22:23], v[24:25], off glc
	s_waitcnt vmcnt(0)
	v_cmp_eq_u16_sdwa s[38:39], v23, v19 src0_sel:BYTE_0 src1_sel:DWORD
	s_and_saveexec_b64 s[36:37], s[38:39]
	s_cbranch_execz .LBB20_66
; %bb.69:                               ;   in Loop: Header=BB20_67 Depth=1
	s_mov_b32 s40, 1
	s_mov_b64 s[38:39], 0
.LBB20_70:                              ;   Parent Loop BB20_67 Depth=1
                                        ; =>  This Loop Header: Depth=2
                                        ;       Child Loop BB20_71 Depth 3
	s_max_u32 s41, s40, 1
.LBB20_71:                              ;   Parent Loop BB20_67 Depth=1
                                        ;     Parent Loop BB20_70 Depth=2
                                        ; =>    This Inner Loop Header: Depth=3
	s_add_i32 s41, s41, -1
	s_cmp_eq_u32 s41, 0
	s_sleep 1
	s_cbranch_scc0 .LBB20_71
; %bb.72:                               ;   in Loop: Header=BB20_70 Depth=2
	global_load_dwordx2 v[22:23], v[24:25], off glc
	s_cmp_lt_u32 s40, 32
	s_cselect_b64 s[42:43], -1, 0
	s_cmp_lg_u64 s[42:43], 0
	s_addc_u32 s40, s40, 0
	s_waitcnt vmcnt(0)
	v_cmp_ne_u16_sdwa s[42:43], v23, v19 src0_sel:BYTE_0 src1_sel:DWORD
	s_or_b64 s[38:39], s[42:43], s[38:39]
	s_andn2_b64 exec, exec, s[38:39]
	s_cbranch_execnz .LBB20_70
; %bb.73:                               ;   in Loop: Header=BB20_67 Depth=1
	s_or_b64 exec, exec, s[38:39]
	s_branch .LBB20_66
.LBB20_74:                              ;   in Loop: Header=BB20_67 Depth=1
                                        ; implicit-def: $vgpr22
                                        ; implicit-def: $vgpr23
	s_cbranch_execz .LBB20_67
; %bb.75:
	s_and_saveexec_b64 s[36:37], s[16:17]
	s_cbranch_execz .LBB20_77
; %bb.76:
	s_add_i32 s38, s33, 64
	s_mov_b32 s39, 0
	s_lshl_b64 s[38:39], s[38:39], 3
	s_add_u32 s38, s30, s38
	v_add_u32_e32 v18, v17, v16
	v_mov_b32_e32 v19, 2
	s_addc_u32 s39, s31, s39
	v_mov_b32_e32 v20, 0
	global_store_dwordx2 v20, v[18:19], s[38:39]
	ds_write_b64 v20, v[16:17] offset:5376
.LBB20_77:
	s_or_b64 exec, exec, s[36:37]
	s_and_b64 exec, exec, s[0:1]
	s_cbranch_execz .LBB20_79
; %bb.78:
	v_mov_b32_e32 v16, 0
	ds_write_b32 v16, v17 offset:8
.LBB20_79:
	s_or_b64 exec, exec, s[34:35]
	v_mov_b32_e32 v16, 0
	s_waitcnt lgkmcnt(0)
	s_barrier
	ds_read_b32 v17, v16 offset:8
	v_cndmask_b32_e64 v18, v28, v26, s[16:17]
	v_cndmask_b32_e64 v18, v18, 0, s[0:1]
	s_waitcnt lgkmcnt(0)
	s_barrier
	v_add_u32_e32 v32, v17, v18
	v_add_u32_e32 v30, v32, v27
	ds_read_b64 v[16:17], v16 offset:5376
	v_add_u32_e32 v28, v30, v29
	v_add_u32_e32 v26, v28, v31
	;; [unrolled: 1-line block ×5, first 2 shown]
	s_waitcnt lgkmcnt(0)
	v_readfirstlane_b32 s33, v16
	v_lshrrev_b64 v[18:19], 24, v[8:9]
	s_branch .LBB20_90
.LBB20_80:
                                        ; implicit-def: $vgpr17
                                        ; implicit-def: $sgpr33
                                        ; implicit-def: $vgpr20
                                        ; implicit-def: $vgpr22
                                        ; implicit-def: $vgpr24
                                        ; implicit-def: $vgpr26
                                        ; implicit-def: $vgpr28
                                        ; implicit-def: $vgpr30
                                        ; implicit-def: $vgpr32
	v_lshrrev_b64 v[18:19], 24, v[8:9]
	s_cbranch_execz .LBB20_90
; %bb.81:
	v_mov_b32_dpp v16, v39 row_shr:1 row_mask:0xf bank_mask:0xf
	v_cndmask_b32_e64 v16, v16, 0, s[14:15]
	v_add_u32_e32 v16, v16, v39
	s_nop 1
	v_mov_b32_dpp v17, v16 row_shr:2 row_mask:0xf bank_mask:0xf
	v_cndmask_b32_e64 v17, 0, v17, s[12:13]
	v_add_u32_e32 v16, v16, v17
	s_nop 1
	;; [unrolled: 4-line block ×4, first 2 shown]
	v_mov_b32_dpp v17, v16 row_bcast:15 row_mask:0xf bank_mask:0xf
	v_cndmask_b32_e64 v17, v17, 0, s[4:5]
	v_add_u32_e32 v16, v16, v17
	s_nop 1
	v_mov_b32_dpp v17, v16 row_bcast:31 row_mask:0xf bank_mask:0xf
	v_cndmask_b32_e64 v17, 0, v17, s[2:3]
	v_add_u32_e32 v16, v16, v17
	s_and_saveexec_b64 s[2:3], s[6:7]
	s_cbranch_execz .LBB20_83
; %bb.82:
	v_lshlrev_b32_e32 v17, 2, v38
	ds_write_b32 v17, v16
.LBB20_83:
	s_or_b64 exec, exec, s[2:3]
	v_cmp_gt_u32_e32 vcc, 3, v0
	s_waitcnt lgkmcnt(0)
	s_barrier
	s_and_saveexec_b64 s[2:3], vcc
	s_cbranch_execz .LBB20_85
; %bb.84:
	v_lshlrev_b32_e32 v17, 2, v0
	ds_read_b32 v19, v17
	v_and_b32_e32 v20, 3, v37
	v_cmp_ne_u32_e32 vcc, 0, v20
	s_waitcnt lgkmcnt(0)
	v_mov_b32_dpp v21, v19 row_shr:1 row_mask:0xf bank_mask:0xf
	v_cndmask_b32_e32 v21, 0, v21, vcc
	v_add_u32_e32 v19, v21, v19
	v_cmp_lt_u32_e32 vcc, 1, v20
	s_nop 0
	v_mov_b32_dpp v21, v19 row_shr:2 row_mask:0xf bank_mask:0xf
	v_cndmask_b32_e32 v20, 0, v21, vcc
	v_add_u32_e32 v19, v19, v20
	ds_write_b32 v17, v19
.LBB20_85:
	s_or_b64 exec, exec, s[2:3]
	v_cmp_lt_u32_e32 vcc, 63, v0
	v_mov_b32_e32 v19, 0
	v_mov_b32_e32 v17, 0
	s_waitcnt lgkmcnt(0)
	s_barrier
	s_and_saveexec_b64 s[2:3], vcc
	s_cbranch_execz .LBB20_87
; %bb.86:
	v_lshl_add_u32 v17, v38, 2, -4
	ds_read_b32 v17, v17
.LBB20_87:
	s_or_b64 exec, exec, s[2:3]
	v_add_u32_e32 v20, -1, v37
	v_and_b32_e32 v21, 64, v37
	v_cmp_lt_i32_e32 vcc, v20, v21
	v_cndmask_b32_e32 v20, v20, v37, vcc
	s_waitcnt lgkmcnt(0)
	v_add_u32_e32 v16, v17, v16
	v_lshlrev_b32_e32 v20, 2, v20
	ds_read_b32 v19, v19 offset:8
	ds_bpermute_b32 v16, v20, v16
	s_waitcnt lgkmcnt(1)
	v_readfirstlane_b32 s33, v19
	s_and_saveexec_b64 s[2:3], s[0:1]
	s_cbranch_execz .LBB20_89
; %bb.88:
	v_mov_b32_e32 v19, 0
	v_mov_b32_e32 v20, s33
	;; [unrolled: 1-line block ×3, first 2 shown]
	global_store_dwordx2 v19, v[20:21], s[30:31] offset:512
.LBB20_89:
	s_or_b64 exec, exec, s[2:3]
	v_cmp_eq_u32_e32 vcc, 0, v37
	s_waitcnt lgkmcnt(0)
	v_cndmask_b32_e32 v16, v16, v17, vcc
	v_cndmask_b32_e64 v32, v16, 0, s[0:1]
	v_add_u32_e32 v30, v32, v27
	v_add_u32_e32 v28, v30, v29
	;; [unrolled: 1-line block ×5, first 2 shown]
	v_mov_b32_e32 v17, 0
	v_add_u32_e32 v20, v22, v36
	s_barrier
.LBB20_90:
	s_cmpk_lt_u32 s33, 0xc1
	s_cselect_b64 s[4:5], -1, 0
	v_add_u32_e32 v35, s33, v17
	v_lshrrev_b32_e32 v19, 8, v8
	v_lshrrev_b32_e32 v16, 8, v9
	s_mov_b64 s[6:7], -1
	s_and_b64 vcc, exec, s[4:5]
	v_cmp_lt_u32_e64 s[2:3], v32, v35
	s_cbranch_vccz .LBB20_113
; %bb.91:
	s_lshl_b64 s[6:7], s[18:19], 2
	s_add_u32 s6, s24, s6
	s_addc_u32 s7, s25, s7
	s_or_b64 s[8:9], s[28:29], s[2:3]
	s_and_saveexec_b64 s[2:3], s[8:9]
	s_cbranch_execz .LBB20_94
; %bb.92:
	v_and_b32_e32 v21, 1, v8
	v_cmp_eq_u32_e32 vcc, 1, v21
	s_and_b64 exec, exec, vcc
	s_cbranch_execz .LBB20_94
; %bb.93:
	v_mov_b32_e32 v33, 0
	v_lshlrev_b64 v[36:37], 2, v[32:33]
	v_mov_b32_e32 v21, s7
	v_add_co_u32_e32 v36, vcc, s6, v36
	v_addc_co_u32_e32 v37, vcc, v21, v37, vcc
	global_store_dword v[36:37], v14, off
.LBB20_94:
	s_or_b64 exec, exec, s[2:3]
	v_cmp_lt_u32_e32 vcc, v30, v35
	s_or_b64 s[8:9], s[28:29], vcc
	s_and_saveexec_b64 s[2:3], s[8:9]
	s_cbranch_execz .LBB20_97
; %bb.95:
	v_and_b32_e32 v21, 1, v19
	v_cmp_eq_u32_e32 vcc, 1, v21
	s_and_b64 exec, exec, vcc
	s_cbranch_execz .LBB20_97
; %bb.96:
	v_mov_b32_e32 v31, 0
	v_lshlrev_b64 v[36:37], 2, v[30:31]
	v_mov_b32_e32 v21, s7
	v_add_co_u32_e32 v36, vcc, s6, v36
	v_addc_co_u32_e32 v37, vcc, v21, v37, vcc
	global_store_dword v[36:37], v15, off
.LBB20_97:
	s_or_b64 exec, exec, s[2:3]
	v_cmp_lt_u32_e32 vcc, v28, v35
	s_or_b64 s[8:9], s[28:29], vcc
	s_and_saveexec_b64 s[2:3], s[8:9]
	s_cbranch_execz .LBB20_100
; %bb.98:
	v_mov_b32_e32 v21, 1
	v_and_b32_sdwa v21, v21, v8 dst_sel:DWORD dst_unused:UNUSED_PAD src0_sel:DWORD src1_sel:WORD_1
	v_cmp_eq_u32_e32 vcc, 1, v21
	s_and_b64 exec, exec, vcc
	s_cbranch_execz .LBB20_100
; %bb.99:
	v_mov_b32_e32 v29, 0
	v_lshlrev_b64 v[36:37], 2, v[28:29]
	v_mov_b32_e32 v21, s7
	v_add_co_u32_e32 v36, vcc, s6, v36
	v_addc_co_u32_e32 v37, vcc, v21, v37, vcc
	global_store_dword v[36:37], v12, off
.LBB20_100:
	s_or_b64 exec, exec, s[2:3]
	v_cmp_lt_u32_e32 vcc, v26, v35
	s_or_b64 s[8:9], s[28:29], vcc
	s_and_saveexec_b64 s[2:3], s[8:9]
	s_cbranch_execz .LBB20_103
; %bb.101:
	v_and_b32_e32 v21, 1, v18
	v_cmp_eq_u32_e32 vcc, 1, v21
	s_and_b64 exec, exec, vcc
	s_cbranch_execz .LBB20_103
; %bb.102:
	v_mov_b32_e32 v27, 0
	v_lshlrev_b64 v[36:37], 2, v[26:27]
	v_mov_b32_e32 v21, s7
	v_add_co_u32_e32 v36, vcc, s6, v36
	v_addc_co_u32_e32 v37, vcc, v21, v37, vcc
	global_store_dword v[36:37], v13, off
.LBB20_103:
	s_or_b64 exec, exec, s[2:3]
	v_cmp_lt_u32_e32 vcc, v24, v35
	s_or_b64 s[8:9], s[28:29], vcc
	s_and_saveexec_b64 s[2:3], s[8:9]
	s_cbranch_execz .LBB20_106
; %bb.104:
	v_and_b32_e32 v21, 1, v9
	v_cmp_eq_u32_e32 vcc, 1, v21
	s_and_b64 exec, exec, vcc
	s_cbranch_execz .LBB20_106
; %bb.105:
	v_mov_b32_e32 v25, 0
	v_lshlrev_b64 v[36:37], 2, v[24:25]
	v_mov_b32_e32 v21, s7
	v_add_co_u32_e32 v36, vcc, s6, v36
	v_addc_co_u32_e32 v37, vcc, v21, v37, vcc
	global_store_dword v[36:37], v10, off
.LBB20_106:
	;; [unrolled: 18-line block ×3, first 2 shown]
	s_or_b64 exec, exec, s[2:3]
	v_cmp_lt_u32_e32 vcc, v20, v35
	s_or_b64 s[8:9], s[28:29], vcc
	s_and_saveexec_b64 s[2:3], s[8:9]
	s_cbranch_execz .LBB20_112
; %bb.110:
	v_mov_b32_e32 v21, 1
	v_and_b32_sdwa v21, v21, v9 dst_sel:DWORD dst_unused:UNUSED_PAD src0_sel:DWORD src1_sel:WORD_1
	v_cmp_eq_u32_e32 vcc, 1, v21
	s_and_b64 exec, exec, vcc
	s_cbranch_execz .LBB20_112
; %bb.111:
	v_mov_b32_e32 v21, 0
	v_lshlrev_b64 v[36:37], 2, v[20:21]
	v_mov_b32_e32 v21, s7
	v_add_co_u32_e32 v36, vcc, s6, v36
	v_addc_co_u32_e32 v37, vcc, v21, v37, vcc
	global_store_dword v[36:37], v34, off
.LBB20_112:
	s_or_b64 exec, exec, s[2:3]
	s_mov_b64 s[6:7], 0
.LBB20_113:
	v_and_b32_e32 v36, 1, v8
	s_and_b64 vcc, exec, s[6:7]
	v_cmp_eq_u32_e64 s[2:3], 1, v36
	s_cbranch_vccz .LBB20_132
; %bb.114:
	s_and_saveexec_b64 s[6:7], s[2:3]
	s_cbranch_execz .LBB20_116
; %bb.115:
	v_sub_u32_e32 v21, v32, v17
	v_lshlrev_b32_e32 v21, 2, v21
	ds_write_b32 v21, v14
.LBB20_116:
	s_or_b64 exec, exec, s[6:7]
	v_and_b32_e32 v14, 1, v19
	v_cmp_eq_u32_e32 vcc, 1, v14
	s_and_saveexec_b64 s[2:3], vcc
	s_cbranch_execz .LBB20_118
; %bb.117:
	v_sub_u32_e32 v14, v30, v17
	v_lshlrev_b32_e32 v14, 2, v14
	ds_write_b32 v14, v15
.LBB20_118:
	s_or_b64 exec, exec, s[2:3]
	v_mov_b32_e32 v14, 1
	v_and_b32_sdwa v14, v14, v8 dst_sel:DWORD dst_unused:UNUSED_PAD src0_sel:DWORD src1_sel:WORD_1
	v_cmp_eq_u32_e32 vcc, 1, v14
	s_and_saveexec_b64 s[2:3], vcc
	s_cbranch_execz .LBB20_120
; %bb.119:
	v_sub_u32_e32 v14, v28, v17
	v_lshlrev_b32_e32 v14, 2, v14
	ds_write_b32 v14, v12
.LBB20_120:
	s_or_b64 exec, exec, s[2:3]
	v_and_b32_e32 v12, 1, v18
	v_cmp_eq_u32_e32 vcc, 1, v12
	s_and_saveexec_b64 s[2:3], vcc
	s_cbranch_execz .LBB20_122
; %bb.121:
	v_sub_u32_e32 v12, v26, v17
	v_lshlrev_b32_e32 v12, 2, v12
	ds_write_b32 v12, v13
.LBB20_122:
	s_or_b64 exec, exec, s[2:3]
	v_and_b32_e32 v12, 1, v9
	;; [unrolled: 10-line block ×3, first 2 shown]
	v_cmp_eq_u32_e32 vcc, 1, v10
	s_and_saveexec_b64 s[2:3], vcc
	s_cbranch_execz .LBB20_126
; %bb.125:
	v_sub_u32_e32 v10, v22, v17
	v_lshlrev_b32_e32 v10, 2, v10
	ds_write_b32 v10, v11
.LBB20_126:
	s_or_b64 exec, exec, s[2:3]
	v_mov_b32_e32 v10, 1
	v_and_b32_sdwa v10, v10, v9 dst_sel:DWORD dst_unused:UNUSED_PAD src0_sel:DWORD src1_sel:WORD_1
	v_cmp_eq_u32_e32 vcc, 1, v10
	s_and_saveexec_b64 s[2:3], vcc
	s_cbranch_execz .LBB20_128
; %bb.127:
	v_sub_u32_e32 v10, v20, v17
	v_lshlrev_b32_e32 v10, 2, v10
	ds_write_b32 v10, v34
.LBB20_128:
	s_or_b64 exec, exec, s[2:3]
	v_cmp_gt_u32_e32 vcc, s33, v0
	s_waitcnt lgkmcnt(0)
	s_barrier
	s_and_saveexec_b64 s[2:3], vcc
	s_cbranch_execz .LBB20_131
; %bb.129:
	s_lshl_b64 s[6:7], s[18:19], 2
	v_mov_b32_e32 v11, 0
	v_mov_b32_e32 v10, v17
	s_add_u32 s6, s24, s6
	s_addc_u32 s7, s25, s7
	v_lshlrev_b64 v[12:13], 2, v[10:11]
	v_mov_b32_e32 v10, s7
	v_add_co_u32_e32 v12, vcc, s6, v12
	v_addc_co_u32_e32 v13, vcc, v10, v13, vcc
	v_lshlrev_b32_e32 v14, 2, v0
	s_mov_b64 s[6:7], 0
	v_mov_b32_e32 v10, v0
.LBB20_130:                             ; =>This Inner Loop Header: Depth=1
	ds_read_b32 v15, v14
	v_lshlrev_b64 v[38:39], 2, v[10:11]
	v_add_co_u32_e32 v38, vcc, v12, v38
	v_add_u32_e32 v10, 0xc0, v10
	v_addc_co_u32_e32 v39, vcc, v13, v39, vcc
	v_cmp_le_u32_e32 vcc, s33, v10
	v_add_u32_e32 v14, 0x300, v14
	s_or_b64 s[6:7], vcc, s[6:7]
	s_waitcnt lgkmcnt(0)
	global_store_dword v[38:39], v15, off
	s_andn2_b64 exec, exec, s[6:7]
	s_cbranch_execnz .LBB20_130
.LBB20_131:
	s_or_b64 exec, exec, s[2:3]
.LBB20_132:
	s_mov_b64 s[2:3], -1
	s_and_b64 vcc, exec, s[4:5]
	s_barrier
	s_cbranch_vccnz .LBB20_136
; %bb.133:
	s_and_b64 vcc, exec, s[2:3]
	s_cbranch_vccnz .LBB20_158
.LBB20_134:
	s_and_b64 s[0:1], s[0:1], s[22:23]
	s_and_saveexec_b64 s[2:3], s[0:1]
	s_cbranch_execnz .LBB20_176
.LBB20_135:
	s_endpgm
.LBB20_136:
	s_lshl_b64 s[2:3], s[18:19], 2
	s_add_u32 s4, s26, s2
	v_cmp_lt_u32_e32 vcc, v32, v35
	s_addc_u32 s5, s27, s3
	s_or_b64 s[6:7], s[28:29], vcc
	s_and_saveexec_b64 s[2:3], s[6:7]
	s_cbranch_execz .LBB20_139
; %bb.137:
	v_cmp_eq_u32_e32 vcc, 1, v36
	s_and_b64 exec, exec, vcc
	s_cbranch_execz .LBB20_139
; %bb.138:
	v_mov_b32_e32 v33, 0
	v_lshlrev_b64 v[10:11], 2, v[32:33]
	v_mov_b32_e32 v12, s5
	v_add_co_u32_e32 v10, vcc, s4, v10
	v_addc_co_u32_e32 v11, vcc, v12, v11, vcc
	global_store_dword v[10:11], v6, off
.LBB20_139:
	s_or_b64 exec, exec, s[2:3]
	v_cmp_lt_u32_e32 vcc, v30, v35
	s_or_b64 s[6:7], s[28:29], vcc
	s_and_saveexec_b64 s[2:3], s[6:7]
	s_cbranch_execz .LBB20_142
; %bb.140:
	v_and_b32_e32 v10, 1, v19
	v_cmp_eq_u32_e32 vcc, 1, v10
	s_and_b64 exec, exec, vcc
	s_cbranch_execz .LBB20_142
; %bb.141:
	v_mov_b32_e32 v31, 0
	v_lshlrev_b64 v[10:11], 2, v[30:31]
	v_mov_b32_e32 v12, s5
	v_add_co_u32_e32 v10, vcc, s4, v10
	v_addc_co_u32_e32 v11, vcc, v12, v11, vcc
	global_store_dword v[10:11], v7, off
.LBB20_142:
	s_or_b64 exec, exec, s[2:3]
	v_cmp_lt_u32_e32 vcc, v28, v35
	s_or_b64 s[6:7], s[28:29], vcc
	s_and_saveexec_b64 s[2:3], s[6:7]
	s_cbranch_execz .LBB20_145
; %bb.143:
	v_mov_b32_e32 v10, 1
	v_and_b32_sdwa v10, v10, v8 dst_sel:DWORD dst_unused:UNUSED_PAD src0_sel:DWORD src1_sel:WORD_1
	v_cmp_eq_u32_e32 vcc, 1, v10
	s_and_b64 exec, exec, vcc
	s_cbranch_execz .LBB20_145
; %bb.144:
	v_mov_b32_e32 v29, 0
	v_lshlrev_b64 v[10:11], 2, v[28:29]
	v_mov_b32_e32 v12, s5
	v_add_co_u32_e32 v10, vcc, s4, v10
	v_addc_co_u32_e32 v11, vcc, v12, v11, vcc
	global_store_dword v[10:11], v4, off
.LBB20_145:
	s_or_b64 exec, exec, s[2:3]
	v_cmp_lt_u32_e32 vcc, v26, v35
	s_or_b64 s[6:7], s[28:29], vcc
	s_and_saveexec_b64 s[2:3], s[6:7]
	s_cbranch_execz .LBB20_148
; %bb.146:
	v_and_b32_e32 v10, 1, v18
	v_cmp_eq_u32_e32 vcc, 1, v10
	s_and_b64 exec, exec, vcc
	s_cbranch_execz .LBB20_148
; %bb.147:
	v_mov_b32_e32 v27, 0
	v_lshlrev_b64 v[10:11], 2, v[26:27]
	v_mov_b32_e32 v12, s5
	v_add_co_u32_e32 v10, vcc, s4, v10
	v_addc_co_u32_e32 v11, vcc, v12, v11, vcc
	global_store_dword v[10:11], v5, off
.LBB20_148:
	s_or_b64 exec, exec, s[2:3]
	v_cmp_lt_u32_e32 vcc, v24, v35
	s_or_b64 s[6:7], s[28:29], vcc
	s_and_saveexec_b64 s[2:3], s[6:7]
	s_cbranch_execz .LBB20_151
; %bb.149:
	v_and_b32_e32 v10, 1, v9
	v_cmp_eq_u32_e32 vcc, 1, v10
	s_and_b64 exec, exec, vcc
	s_cbranch_execz .LBB20_151
; %bb.150:
	v_mov_b32_e32 v25, 0
	v_lshlrev_b64 v[10:11], 2, v[24:25]
	v_mov_b32_e32 v12, s5
	v_add_co_u32_e32 v10, vcc, s4, v10
	v_addc_co_u32_e32 v11, vcc, v12, v11, vcc
	global_store_dword v[10:11], v2, off
.LBB20_151:
	;; [unrolled: 18-line block ×3, first 2 shown]
	s_or_b64 exec, exec, s[2:3]
	v_cmp_lt_u32_e32 vcc, v20, v35
	s_or_b64 s[6:7], s[28:29], vcc
	s_and_saveexec_b64 s[2:3], s[6:7]
	s_cbranch_execz .LBB20_157
; %bb.155:
	v_mov_b32_e32 v10, 1
	v_and_b32_sdwa v10, v10, v9 dst_sel:DWORD dst_unused:UNUSED_PAD src0_sel:DWORD src1_sel:WORD_1
	v_cmp_eq_u32_e32 vcc, 1, v10
	s_and_b64 exec, exec, vcc
	s_cbranch_execz .LBB20_157
; %bb.156:
	v_mov_b32_e32 v21, 0
	v_lshlrev_b64 v[10:11], 2, v[20:21]
	v_mov_b32_e32 v12, s5
	v_add_co_u32_e32 v10, vcc, s4, v10
	v_addc_co_u32_e32 v11, vcc, v12, v11, vcc
	global_store_dword v[10:11], v1, off
.LBB20_157:
	s_or_b64 exec, exec, s[2:3]
	s_branch .LBB20_134
.LBB20_158:
	v_cmp_eq_u32_e32 vcc, 1, v36
	s_and_saveexec_b64 s[2:3], vcc
	s_cbranch_execz .LBB20_160
; %bb.159:
	v_sub_u32_e32 v10, v32, v17
	v_lshlrev_b32_e32 v10, 2, v10
	ds_write_b32 v10, v6
.LBB20_160:
	s_or_b64 exec, exec, s[2:3]
	v_and_b32_e32 v6, 1, v19
	v_cmp_eq_u32_e32 vcc, 1, v6
	s_and_saveexec_b64 s[2:3], vcc
	s_cbranch_execz .LBB20_162
; %bb.161:
	v_sub_u32_e32 v6, v30, v17
	v_lshlrev_b32_e32 v6, 2, v6
	ds_write_b32 v6, v7
.LBB20_162:
	s_or_b64 exec, exec, s[2:3]
	v_mov_b32_e32 v6, 1
	v_and_b32_sdwa v6, v6, v8 dst_sel:DWORD dst_unused:UNUSED_PAD src0_sel:DWORD src1_sel:WORD_1
	v_cmp_eq_u32_e32 vcc, 1, v6
	s_and_saveexec_b64 s[2:3], vcc
	s_cbranch_execz .LBB20_164
; %bb.163:
	v_sub_u32_e32 v6, v28, v17
	v_lshlrev_b32_e32 v6, 2, v6
	ds_write_b32 v6, v4
.LBB20_164:
	s_or_b64 exec, exec, s[2:3]
	v_and_b32_e32 v4, 1, v18
	v_cmp_eq_u32_e32 vcc, 1, v4
	s_and_saveexec_b64 s[2:3], vcc
	s_cbranch_execz .LBB20_166
; %bb.165:
	v_sub_u32_e32 v4, v26, v17
	v_lshlrev_b32_e32 v4, 2, v4
	ds_write_b32 v4, v5
.LBB20_166:
	s_or_b64 exec, exec, s[2:3]
	v_and_b32_e32 v4, 1, v9
	;; [unrolled: 10-line block ×3, first 2 shown]
	v_cmp_eq_u32_e32 vcc, 1, v2
	s_and_saveexec_b64 s[2:3], vcc
	s_cbranch_execz .LBB20_170
; %bb.169:
	v_sub_u32_e32 v2, v22, v17
	v_lshlrev_b32_e32 v2, 2, v2
	ds_write_b32 v2, v3
.LBB20_170:
	s_or_b64 exec, exec, s[2:3]
	v_mov_b32_e32 v2, 1
	v_and_b32_sdwa v2, v2, v9 dst_sel:DWORD dst_unused:UNUSED_PAD src0_sel:DWORD src1_sel:WORD_1
	v_cmp_eq_u32_e32 vcc, 1, v2
	s_and_saveexec_b64 s[2:3], vcc
	s_cbranch_execz .LBB20_172
; %bb.171:
	v_sub_u32_e32 v2, v20, v17
	v_lshlrev_b32_e32 v2, 2, v2
	ds_write_b32 v2, v1
.LBB20_172:
	s_or_b64 exec, exec, s[2:3]
	v_cmp_gt_u32_e32 vcc, s33, v0
	s_waitcnt lgkmcnt(0)
	s_barrier
	s_and_saveexec_b64 s[2:3], vcc
	s_cbranch_execz .LBB20_175
; %bb.173:
	v_mov_b32_e32 v1, 0
	s_lshl_b64 s[4:5], s[18:19], 2
	v_mov_b32_e32 v2, v17
	v_mov_b32_e32 v3, v1
	s_add_u32 s4, s26, s4
	s_addc_u32 s5, s27, s5
	v_lshlrev_b64 v[2:3], 2, v[2:3]
	v_mov_b32_e32 v4, s5
	v_add_co_u32_e32 v2, vcc, s4, v2
	v_addc_co_u32_e32 v3, vcc, v4, v3, vcc
	v_lshlrev_b32_e32 v4, 2, v0
	s_mov_b64 s[4:5], 0
.LBB20_174:                             ; =>This Inner Loop Header: Depth=1
	ds_read_b32 v5, v4
	v_lshlrev_b64 v[6:7], 2, v[0:1]
	v_add_co_u32_e32 v6, vcc, v2, v6
	v_add_u32_e32 v0, 0xc0, v0
	v_addc_co_u32_e32 v7, vcc, v3, v7, vcc
	v_cmp_le_u32_e32 vcc, s33, v0
	v_add_u32_e32 v4, 0x300, v4
	s_or_b64 s[4:5], vcc, s[4:5]
	s_waitcnt lgkmcnt(0)
	global_store_dword v[6:7], v5, off
	s_andn2_b64 exec, exec, s[4:5]
	s_cbranch_execnz .LBB20_174
.LBB20_175:
	s_or_b64 exec, exec, s[2:3]
	s_and_b64 s[0:1], s[0:1], s[22:23]
	s_and_saveexec_b64 s[2:3], s[0:1]
	s_cbranch_execz .LBB20_135
.LBB20_176:
	s_add_u32 s0, s18, s33
	s_addc_u32 s1, s19, 0
	v_mov_b32_e32 v1, s1
	v_add_co_u32_e32 v0, vcc, s0, v17
	v_mov_b32_e32 v2, 0
	v_addc_co_u32_e32 v1, vcc, 0, v1, vcc
	global_store_dwordx2 v2, v[0:1], s[20:21]
	s_endpgm
.LBB20_177:
	s_or_b64 exec, exec, s[6:7]
	s_and_saveexec_b64 s[2:3], s[36:37]
	s_cbranch_execnz .LBB20_46
	s_branch .LBB20_47
	.section	.rodata,"a",@progbits
	.p2align	6, 0x0
	.amdhsa_kernel _ZN7rocprim17ROCPRIM_400000_NS6detail17trampoline_kernelINS0_14default_configENS1_25partition_config_selectorILNS1_17partition_subalgoE9EiibEEZZNS1_14partition_implILS5_9ELb0ES3_jPKiN6thrust23THRUST_200600_302600_NS17counting_iteratorIiNSB_11use_defaultESD_SD_EEPNS0_10empty_typeENS0_5tupleIJPiSF_EEENSH_IJSI_SG_EEENS0_18inequality_wrapperIN6hipcub16HIPCUB_304000_NS8EqualityEEEPlJSF_EEE10hipError_tPvRmT3_T4_T5_T6_T7_T9_mT8_P12ihipStream_tbDpT10_ENKUlT_T0_E_clISt17integral_constantIbLb1EES1A_EEDaS15_S16_EUlS15_E_NS1_11comp_targetILNS1_3genE4ELNS1_11target_archE910ELNS1_3gpuE8ELNS1_3repE0EEENS1_30default_config_static_selectorELNS0_4arch9wavefront6targetE1EEEvT1_
		.amdhsa_group_segment_fixed_size 5384
		.amdhsa_private_segment_fixed_size 0
		.amdhsa_kernarg_size 128
		.amdhsa_user_sgpr_count 6
		.amdhsa_user_sgpr_private_segment_buffer 1
		.amdhsa_user_sgpr_dispatch_ptr 0
		.amdhsa_user_sgpr_queue_ptr 0
		.amdhsa_user_sgpr_kernarg_segment_ptr 1
		.amdhsa_user_sgpr_dispatch_id 0
		.amdhsa_user_sgpr_flat_scratch_init 0
		.amdhsa_user_sgpr_kernarg_preload_length 0
		.amdhsa_user_sgpr_kernarg_preload_offset 0
		.amdhsa_user_sgpr_private_segment_size 0
		.amdhsa_uses_dynamic_stack 0
		.amdhsa_system_sgpr_private_segment_wavefront_offset 0
		.amdhsa_system_sgpr_workgroup_id_x 1
		.amdhsa_system_sgpr_workgroup_id_y 0
		.amdhsa_system_sgpr_workgroup_id_z 0
		.amdhsa_system_sgpr_workgroup_info 0
		.amdhsa_system_vgpr_workitem_id 0
		.amdhsa_next_free_vgpr 52
		.amdhsa_next_free_sgpr 44
		.amdhsa_accum_offset 52
		.amdhsa_reserve_vcc 1
		.amdhsa_reserve_flat_scratch 0
		.amdhsa_float_round_mode_32 0
		.amdhsa_float_round_mode_16_64 0
		.amdhsa_float_denorm_mode_32 3
		.amdhsa_float_denorm_mode_16_64 3
		.amdhsa_dx10_clamp 1
		.amdhsa_ieee_mode 1
		.amdhsa_fp16_overflow 0
		.amdhsa_tg_split 0
		.amdhsa_exception_fp_ieee_invalid_op 0
		.amdhsa_exception_fp_denorm_src 0
		.amdhsa_exception_fp_ieee_div_zero 0
		.amdhsa_exception_fp_ieee_overflow 0
		.amdhsa_exception_fp_ieee_underflow 0
		.amdhsa_exception_fp_ieee_inexact 0
		.amdhsa_exception_int_div_zero 0
	.end_amdhsa_kernel
	.section	.text._ZN7rocprim17ROCPRIM_400000_NS6detail17trampoline_kernelINS0_14default_configENS1_25partition_config_selectorILNS1_17partition_subalgoE9EiibEEZZNS1_14partition_implILS5_9ELb0ES3_jPKiN6thrust23THRUST_200600_302600_NS17counting_iteratorIiNSB_11use_defaultESD_SD_EEPNS0_10empty_typeENS0_5tupleIJPiSF_EEENSH_IJSI_SG_EEENS0_18inequality_wrapperIN6hipcub16HIPCUB_304000_NS8EqualityEEEPlJSF_EEE10hipError_tPvRmT3_T4_T5_T6_T7_T9_mT8_P12ihipStream_tbDpT10_ENKUlT_T0_E_clISt17integral_constantIbLb1EES1A_EEDaS15_S16_EUlS15_E_NS1_11comp_targetILNS1_3genE4ELNS1_11target_archE910ELNS1_3gpuE8ELNS1_3repE0EEENS1_30default_config_static_selectorELNS0_4arch9wavefront6targetE1EEEvT1_,"axG",@progbits,_ZN7rocprim17ROCPRIM_400000_NS6detail17trampoline_kernelINS0_14default_configENS1_25partition_config_selectorILNS1_17partition_subalgoE9EiibEEZZNS1_14partition_implILS5_9ELb0ES3_jPKiN6thrust23THRUST_200600_302600_NS17counting_iteratorIiNSB_11use_defaultESD_SD_EEPNS0_10empty_typeENS0_5tupleIJPiSF_EEENSH_IJSI_SG_EEENS0_18inequality_wrapperIN6hipcub16HIPCUB_304000_NS8EqualityEEEPlJSF_EEE10hipError_tPvRmT3_T4_T5_T6_T7_T9_mT8_P12ihipStream_tbDpT10_ENKUlT_T0_E_clISt17integral_constantIbLb1EES1A_EEDaS15_S16_EUlS15_E_NS1_11comp_targetILNS1_3genE4ELNS1_11target_archE910ELNS1_3gpuE8ELNS1_3repE0EEENS1_30default_config_static_selectorELNS0_4arch9wavefront6targetE1EEEvT1_,comdat
.Lfunc_end20:
	.size	_ZN7rocprim17ROCPRIM_400000_NS6detail17trampoline_kernelINS0_14default_configENS1_25partition_config_selectorILNS1_17partition_subalgoE9EiibEEZZNS1_14partition_implILS5_9ELb0ES3_jPKiN6thrust23THRUST_200600_302600_NS17counting_iteratorIiNSB_11use_defaultESD_SD_EEPNS0_10empty_typeENS0_5tupleIJPiSF_EEENSH_IJSI_SG_EEENS0_18inequality_wrapperIN6hipcub16HIPCUB_304000_NS8EqualityEEEPlJSF_EEE10hipError_tPvRmT3_T4_T5_T6_T7_T9_mT8_P12ihipStream_tbDpT10_ENKUlT_T0_E_clISt17integral_constantIbLb1EES1A_EEDaS15_S16_EUlS15_E_NS1_11comp_targetILNS1_3genE4ELNS1_11target_archE910ELNS1_3gpuE8ELNS1_3repE0EEENS1_30default_config_static_selectorELNS0_4arch9wavefront6targetE1EEEvT1_, .Lfunc_end20-_ZN7rocprim17ROCPRIM_400000_NS6detail17trampoline_kernelINS0_14default_configENS1_25partition_config_selectorILNS1_17partition_subalgoE9EiibEEZZNS1_14partition_implILS5_9ELb0ES3_jPKiN6thrust23THRUST_200600_302600_NS17counting_iteratorIiNSB_11use_defaultESD_SD_EEPNS0_10empty_typeENS0_5tupleIJPiSF_EEENSH_IJSI_SG_EEENS0_18inequality_wrapperIN6hipcub16HIPCUB_304000_NS8EqualityEEEPlJSF_EEE10hipError_tPvRmT3_T4_T5_T6_T7_T9_mT8_P12ihipStream_tbDpT10_ENKUlT_T0_E_clISt17integral_constantIbLb1EES1A_EEDaS15_S16_EUlS15_E_NS1_11comp_targetILNS1_3genE4ELNS1_11target_archE910ELNS1_3gpuE8ELNS1_3repE0EEENS1_30default_config_static_selectorELNS0_4arch9wavefront6targetE1EEEvT1_
                                        ; -- End function
	.section	.AMDGPU.csdata,"",@progbits
; Kernel info:
; codeLenInByte = 6600
; NumSgprs: 48
; NumVgprs: 52
; NumAgprs: 0
; TotalNumVgprs: 52
; ScratchSize: 0
; MemoryBound: 0
; FloatMode: 240
; IeeeMode: 1
; LDSByteSize: 5384 bytes/workgroup (compile time only)
; SGPRBlocks: 5
; VGPRBlocks: 6
; NumSGPRsForWavesPerEU: 48
; NumVGPRsForWavesPerEU: 52
; AccumOffset: 52
; Occupancy: 8
; WaveLimiterHint : 1
; COMPUTE_PGM_RSRC2:SCRATCH_EN: 0
; COMPUTE_PGM_RSRC2:USER_SGPR: 6
; COMPUTE_PGM_RSRC2:TRAP_HANDLER: 0
; COMPUTE_PGM_RSRC2:TGID_X_EN: 1
; COMPUTE_PGM_RSRC2:TGID_Y_EN: 0
; COMPUTE_PGM_RSRC2:TGID_Z_EN: 0
; COMPUTE_PGM_RSRC2:TIDIG_COMP_CNT: 0
; COMPUTE_PGM_RSRC3_GFX90A:ACCUM_OFFSET: 12
; COMPUTE_PGM_RSRC3_GFX90A:TG_SPLIT: 0
	.section	.text._ZN7rocprim17ROCPRIM_400000_NS6detail17trampoline_kernelINS0_14default_configENS1_25partition_config_selectorILNS1_17partition_subalgoE9EiibEEZZNS1_14partition_implILS5_9ELb0ES3_jPKiN6thrust23THRUST_200600_302600_NS17counting_iteratorIiNSB_11use_defaultESD_SD_EEPNS0_10empty_typeENS0_5tupleIJPiSF_EEENSH_IJSI_SG_EEENS0_18inequality_wrapperIN6hipcub16HIPCUB_304000_NS8EqualityEEEPlJSF_EEE10hipError_tPvRmT3_T4_T5_T6_T7_T9_mT8_P12ihipStream_tbDpT10_ENKUlT_T0_E_clISt17integral_constantIbLb1EES1A_EEDaS15_S16_EUlS15_E_NS1_11comp_targetILNS1_3genE3ELNS1_11target_archE908ELNS1_3gpuE7ELNS1_3repE0EEENS1_30default_config_static_selectorELNS0_4arch9wavefront6targetE1EEEvT1_,"axG",@progbits,_ZN7rocprim17ROCPRIM_400000_NS6detail17trampoline_kernelINS0_14default_configENS1_25partition_config_selectorILNS1_17partition_subalgoE9EiibEEZZNS1_14partition_implILS5_9ELb0ES3_jPKiN6thrust23THRUST_200600_302600_NS17counting_iteratorIiNSB_11use_defaultESD_SD_EEPNS0_10empty_typeENS0_5tupleIJPiSF_EEENSH_IJSI_SG_EEENS0_18inequality_wrapperIN6hipcub16HIPCUB_304000_NS8EqualityEEEPlJSF_EEE10hipError_tPvRmT3_T4_T5_T6_T7_T9_mT8_P12ihipStream_tbDpT10_ENKUlT_T0_E_clISt17integral_constantIbLb1EES1A_EEDaS15_S16_EUlS15_E_NS1_11comp_targetILNS1_3genE3ELNS1_11target_archE908ELNS1_3gpuE7ELNS1_3repE0EEENS1_30default_config_static_selectorELNS0_4arch9wavefront6targetE1EEEvT1_,comdat
	.protected	_ZN7rocprim17ROCPRIM_400000_NS6detail17trampoline_kernelINS0_14default_configENS1_25partition_config_selectorILNS1_17partition_subalgoE9EiibEEZZNS1_14partition_implILS5_9ELb0ES3_jPKiN6thrust23THRUST_200600_302600_NS17counting_iteratorIiNSB_11use_defaultESD_SD_EEPNS0_10empty_typeENS0_5tupleIJPiSF_EEENSH_IJSI_SG_EEENS0_18inequality_wrapperIN6hipcub16HIPCUB_304000_NS8EqualityEEEPlJSF_EEE10hipError_tPvRmT3_T4_T5_T6_T7_T9_mT8_P12ihipStream_tbDpT10_ENKUlT_T0_E_clISt17integral_constantIbLb1EES1A_EEDaS15_S16_EUlS15_E_NS1_11comp_targetILNS1_3genE3ELNS1_11target_archE908ELNS1_3gpuE7ELNS1_3repE0EEENS1_30default_config_static_selectorELNS0_4arch9wavefront6targetE1EEEvT1_ ; -- Begin function _ZN7rocprim17ROCPRIM_400000_NS6detail17trampoline_kernelINS0_14default_configENS1_25partition_config_selectorILNS1_17partition_subalgoE9EiibEEZZNS1_14partition_implILS5_9ELb0ES3_jPKiN6thrust23THRUST_200600_302600_NS17counting_iteratorIiNSB_11use_defaultESD_SD_EEPNS0_10empty_typeENS0_5tupleIJPiSF_EEENSH_IJSI_SG_EEENS0_18inequality_wrapperIN6hipcub16HIPCUB_304000_NS8EqualityEEEPlJSF_EEE10hipError_tPvRmT3_T4_T5_T6_T7_T9_mT8_P12ihipStream_tbDpT10_ENKUlT_T0_E_clISt17integral_constantIbLb1EES1A_EEDaS15_S16_EUlS15_E_NS1_11comp_targetILNS1_3genE3ELNS1_11target_archE908ELNS1_3gpuE7ELNS1_3repE0EEENS1_30default_config_static_selectorELNS0_4arch9wavefront6targetE1EEEvT1_
	.globl	_ZN7rocprim17ROCPRIM_400000_NS6detail17trampoline_kernelINS0_14default_configENS1_25partition_config_selectorILNS1_17partition_subalgoE9EiibEEZZNS1_14partition_implILS5_9ELb0ES3_jPKiN6thrust23THRUST_200600_302600_NS17counting_iteratorIiNSB_11use_defaultESD_SD_EEPNS0_10empty_typeENS0_5tupleIJPiSF_EEENSH_IJSI_SG_EEENS0_18inequality_wrapperIN6hipcub16HIPCUB_304000_NS8EqualityEEEPlJSF_EEE10hipError_tPvRmT3_T4_T5_T6_T7_T9_mT8_P12ihipStream_tbDpT10_ENKUlT_T0_E_clISt17integral_constantIbLb1EES1A_EEDaS15_S16_EUlS15_E_NS1_11comp_targetILNS1_3genE3ELNS1_11target_archE908ELNS1_3gpuE7ELNS1_3repE0EEENS1_30default_config_static_selectorELNS0_4arch9wavefront6targetE1EEEvT1_
	.p2align	8
	.type	_ZN7rocprim17ROCPRIM_400000_NS6detail17trampoline_kernelINS0_14default_configENS1_25partition_config_selectorILNS1_17partition_subalgoE9EiibEEZZNS1_14partition_implILS5_9ELb0ES3_jPKiN6thrust23THRUST_200600_302600_NS17counting_iteratorIiNSB_11use_defaultESD_SD_EEPNS0_10empty_typeENS0_5tupleIJPiSF_EEENSH_IJSI_SG_EEENS0_18inequality_wrapperIN6hipcub16HIPCUB_304000_NS8EqualityEEEPlJSF_EEE10hipError_tPvRmT3_T4_T5_T6_T7_T9_mT8_P12ihipStream_tbDpT10_ENKUlT_T0_E_clISt17integral_constantIbLb1EES1A_EEDaS15_S16_EUlS15_E_NS1_11comp_targetILNS1_3genE3ELNS1_11target_archE908ELNS1_3gpuE7ELNS1_3repE0EEENS1_30default_config_static_selectorELNS0_4arch9wavefront6targetE1EEEvT1_,@function
_ZN7rocprim17ROCPRIM_400000_NS6detail17trampoline_kernelINS0_14default_configENS1_25partition_config_selectorILNS1_17partition_subalgoE9EiibEEZZNS1_14partition_implILS5_9ELb0ES3_jPKiN6thrust23THRUST_200600_302600_NS17counting_iteratorIiNSB_11use_defaultESD_SD_EEPNS0_10empty_typeENS0_5tupleIJPiSF_EEENSH_IJSI_SG_EEENS0_18inequality_wrapperIN6hipcub16HIPCUB_304000_NS8EqualityEEEPlJSF_EEE10hipError_tPvRmT3_T4_T5_T6_T7_T9_mT8_P12ihipStream_tbDpT10_ENKUlT_T0_E_clISt17integral_constantIbLb1EES1A_EEDaS15_S16_EUlS15_E_NS1_11comp_targetILNS1_3genE3ELNS1_11target_archE908ELNS1_3gpuE7ELNS1_3repE0EEENS1_30default_config_static_selectorELNS0_4arch9wavefront6targetE1EEEvT1_: ; @_ZN7rocprim17ROCPRIM_400000_NS6detail17trampoline_kernelINS0_14default_configENS1_25partition_config_selectorILNS1_17partition_subalgoE9EiibEEZZNS1_14partition_implILS5_9ELb0ES3_jPKiN6thrust23THRUST_200600_302600_NS17counting_iteratorIiNSB_11use_defaultESD_SD_EEPNS0_10empty_typeENS0_5tupleIJPiSF_EEENSH_IJSI_SG_EEENS0_18inequality_wrapperIN6hipcub16HIPCUB_304000_NS8EqualityEEEPlJSF_EEE10hipError_tPvRmT3_T4_T5_T6_T7_T9_mT8_P12ihipStream_tbDpT10_ENKUlT_T0_E_clISt17integral_constantIbLb1EES1A_EEDaS15_S16_EUlS15_E_NS1_11comp_targetILNS1_3genE3ELNS1_11target_archE908ELNS1_3gpuE7ELNS1_3repE0EEENS1_30default_config_static_selectorELNS0_4arch9wavefront6targetE1EEEvT1_
; %bb.0:
	.section	.rodata,"a",@progbits
	.p2align	6, 0x0
	.amdhsa_kernel _ZN7rocprim17ROCPRIM_400000_NS6detail17trampoline_kernelINS0_14default_configENS1_25partition_config_selectorILNS1_17partition_subalgoE9EiibEEZZNS1_14partition_implILS5_9ELb0ES3_jPKiN6thrust23THRUST_200600_302600_NS17counting_iteratorIiNSB_11use_defaultESD_SD_EEPNS0_10empty_typeENS0_5tupleIJPiSF_EEENSH_IJSI_SG_EEENS0_18inequality_wrapperIN6hipcub16HIPCUB_304000_NS8EqualityEEEPlJSF_EEE10hipError_tPvRmT3_T4_T5_T6_T7_T9_mT8_P12ihipStream_tbDpT10_ENKUlT_T0_E_clISt17integral_constantIbLb1EES1A_EEDaS15_S16_EUlS15_E_NS1_11comp_targetILNS1_3genE3ELNS1_11target_archE908ELNS1_3gpuE7ELNS1_3repE0EEENS1_30default_config_static_selectorELNS0_4arch9wavefront6targetE1EEEvT1_
		.amdhsa_group_segment_fixed_size 0
		.amdhsa_private_segment_fixed_size 0
		.amdhsa_kernarg_size 128
		.amdhsa_user_sgpr_count 6
		.amdhsa_user_sgpr_private_segment_buffer 1
		.amdhsa_user_sgpr_dispatch_ptr 0
		.amdhsa_user_sgpr_queue_ptr 0
		.amdhsa_user_sgpr_kernarg_segment_ptr 1
		.amdhsa_user_sgpr_dispatch_id 0
		.amdhsa_user_sgpr_flat_scratch_init 0
		.amdhsa_user_sgpr_kernarg_preload_length 0
		.amdhsa_user_sgpr_kernarg_preload_offset 0
		.amdhsa_user_sgpr_private_segment_size 0
		.amdhsa_uses_dynamic_stack 0
		.amdhsa_system_sgpr_private_segment_wavefront_offset 0
		.amdhsa_system_sgpr_workgroup_id_x 1
		.amdhsa_system_sgpr_workgroup_id_y 0
		.amdhsa_system_sgpr_workgroup_id_z 0
		.amdhsa_system_sgpr_workgroup_info 0
		.amdhsa_system_vgpr_workitem_id 0
		.amdhsa_next_free_vgpr 1
		.amdhsa_next_free_sgpr 0
		.amdhsa_accum_offset 4
		.amdhsa_reserve_vcc 0
		.amdhsa_reserve_flat_scratch 0
		.amdhsa_float_round_mode_32 0
		.amdhsa_float_round_mode_16_64 0
		.amdhsa_float_denorm_mode_32 3
		.amdhsa_float_denorm_mode_16_64 3
		.amdhsa_dx10_clamp 1
		.amdhsa_ieee_mode 1
		.amdhsa_fp16_overflow 0
		.amdhsa_tg_split 0
		.amdhsa_exception_fp_ieee_invalid_op 0
		.amdhsa_exception_fp_denorm_src 0
		.amdhsa_exception_fp_ieee_div_zero 0
		.amdhsa_exception_fp_ieee_overflow 0
		.amdhsa_exception_fp_ieee_underflow 0
		.amdhsa_exception_fp_ieee_inexact 0
		.amdhsa_exception_int_div_zero 0
	.end_amdhsa_kernel
	.section	.text._ZN7rocprim17ROCPRIM_400000_NS6detail17trampoline_kernelINS0_14default_configENS1_25partition_config_selectorILNS1_17partition_subalgoE9EiibEEZZNS1_14partition_implILS5_9ELb0ES3_jPKiN6thrust23THRUST_200600_302600_NS17counting_iteratorIiNSB_11use_defaultESD_SD_EEPNS0_10empty_typeENS0_5tupleIJPiSF_EEENSH_IJSI_SG_EEENS0_18inequality_wrapperIN6hipcub16HIPCUB_304000_NS8EqualityEEEPlJSF_EEE10hipError_tPvRmT3_T4_T5_T6_T7_T9_mT8_P12ihipStream_tbDpT10_ENKUlT_T0_E_clISt17integral_constantIbLb1EES1A_EEDaS15_S16_EUlS15_E_NS1_11comp_targetILNS1_3genE3ELNS1_11target_archE908ELNS1_3gpuE7ELNS1_3repE0EEENS1_30default_config_static_selectorELNS0_4arch9wavefront6targetE1EEEvT1_,"axG",@progbits,_ZN7rocprim17ROCPRIM_400000_NS6detail17trampoline_kernelINS0_14default_configENS1_25partition_config_selectorILNS1_17partition_subalgoE9EiibEEZZNS1_14partition_implILS5_9ELb0ES3_jPKiN6thrust23THRUST_200600_302600_NS17counting_iteratorIiNSB_11use_defaultESD_SD_EEPNS0_10empty_typeENS0_5tupleIJPiSF_EEENSH_IJSI_SG_EEENS0_18inequality_wrapperIN6hipcub16HIPCUB_304000_NS8EqualityEEEPlJSF_EEE10hipError_tPvRmT3_T4_T5_T6_T7_T9_mT8_P12ihipStream_tbDpT10_ENKUlT_T0_E_clISt17integral_constantIbLb1EES1A_EEDaS15_S16_EUlS15_E_NS1_11comp_targetILNS1_3genE3ELNS1_11target_archE908ELNS1_3gpuE7ELNS1_3repE0EEENS1_30default_config_static_selectorELNS0_4arch9wavefront6targetE1EEEvT1_,comdat
.Lfunc_end21:
	.size	_ZN7rocprim17ROCPRIM_400000_NS6detail17trampoline_kernelINS0_14default_configENS1_25partition_config_selectorILNS1_17partition_subalgoE9EiibEEZZNS1_14partition_implILS5_9ELb0ES3_jPKiN6thrust23THRUST_200600_302600_NS17counting_iteratorIiNSB_11use_defaultESD_SD_EEPNS0_10empty_typeENS0_5tupleIJPiSF_EEENSH_IJSI_SG_EEENS0_18inequality_wrapperIN6hipcub16HIPCUB_304000_NS8EqualityEEEPlJSF_EEE10hipError_tPvRmT3_T4_T5_T6_T7_T9_mT8_P12ihipStream_tbDpT10_ENKUlT_T0_E_clISt17integral_constantIbLb1EES1A_EEDaS15_S16_EUlS15_E_NS1_11comp_targetILNS1_3genE3ELNS1_11target_archE908ELNS1_3gpuE7ELNS1_3repE0EEENS1_30default_config_static_selectorELNS0_4arch9wavefront6targetE1EEEvT1_, .Lfunc_end21-_ZN7rocprim17ROCPRIM_400000_NS6detail17trampoline_kernelINS0_14default_configENS1_25partition_config_selectorILNS1_17partition_subalgoE9EiibEEZZNS1_14partition_implILS5_9ELb0ES3_jPKiN6thrust23THRUST_200600_302600_NS17counting_iteratorIiNSB_11use_defaultESD_SD_EEPNS0_10empty_typeENS0_5tupleIJPiSF_EEENSH_IJSI_SG_EEENS0_18inequality_wrapperIN6hipcub16HIPCUB_304000_NS8EqualityEEEPlJSF_EEE10hipError_tPvRmT3_T4_T5_T6_T7_T9_mT8_P12ihipStream_tbDpT10_ENKUlT_T0_E_clISt17integral_constantIbLb1EES1A_EEDaS15_S16_EUlS15_E_NS1_11comp_targetILNS1_3genE3ELNS1_11target_archE908ELNS1_3gpuE7ELNS1_3repE0EEENS1_30default_config_static_selectorELNS0_4arch9wavefront6targetE1EEEvT1_
                                        ; -- End function
	.section	.AMDGPU.csdata,"",@progbits
; Kernel info:
; codeLenInByte = 0
; NumSgprs: 4
; NumVgprs: 0
; NumAgprs: 0
; TotalNumVgprs: 0
; ScratchSize: 0
; MemoryBound: 0
; FloatMode: 240
; IeeeMode: 1
; LDSByteSize: 0 bytes/workgroup (compile time only)
; SGPRBlocks: 0
; VGPRBlocks: 0
; NumSGPRsForWavesPerEU: 4
; NumVGPRsForWavesPerEU: 1
; AccumOffset: 4
; Occupancy: 8
; WaveLimiterHint : 0
; COMPUTE_PGM_RSRC2:SCRATCH_EN: 0
; COMPUTE_PGM_RSRC2:USER_SGPR: 6
; COMPUTE_PGM_RSRC2:TRAP_HANDLER: 0
; COMPUTE_PGM_RSRC2:TGID_X_EN: 1
; COMPUTE_PGM_RSRC2:TGID_Y_EN: 0
; COMPUTE_PGM_RSRC2:TGID_Z_EN: 0
; COMPUTE_PGM_RSRC2:TIDIG_COMP_CNT: 0
; COMPUTE_PGM_RSRC3_GFX90A:ACCUM_OFFSET: 0
; COMPUTE_PGM_RSRC3_GFX90A:TG_SPLIT: 0
	.section	.text._ZN7rocprim17ROCPRIM_400000_NS6detail17trampoline_kernelINS0_14default_configENS1_25partition_config_selectorILNS1_17partition_subalgoE9EiibEEZZNS1_14partition_implILS5_9ELb0ES3_jPKiN6thrust23THRUST_200600_302600_NS17counting_iteratorIiNSB_11use_defaultESD_SD_EEPNS0_10empty_typeENS0_5tupleIJPiSF_EEENSH_IJSI_SG_EEENS0_18inequality_wrapperIN6hipcub16HIPCUB_304000_NS8EqualityEEEPlJSF_EEE10hipError_tPvRmT3_T4_T5_T6_T7_T9_mT8_P12ihipStream_tbDpT10_ENKUlT_T0_E_clISt17integral_constantIbLb1EES1A_EEDaS15_S16_EUlS15_E_NS1_11comp_targetILNS1_3genE2ELNS1_11target_archE906ELNS1_3gpuE6ELNS1_3repE0EEENS1_30default_config_static_selectorELNS0_4arch9wavefront6targetE1EEEvT1_,"axG",@progbits,_ZN7rocprim17ROCPRIM_400000_NS6detail17trampoline_kernelINS0_14default_configENS1_25partition_config_selectorILNS1_17partition_subalgoE9EiibEEZZNS1_14partition_implILS5_9ELb0ES3_jPKiN6thrust23THRUST_200600_302600_NS17counting_iteratorIiNSB_11use_defaultESD_SD_EEPNS0_10empty_typeENS0_5tupleIJPiSF_EEENSH_IJSI_SG_EEENS0_18inequality_wrapperIN6hipcub16HIPCUB_304000_NS8EqualityEEEPlJSF_EEE10hipError_tPvRmT3_T4_T5_T6_T7_T9_mT8_P12ihipStream_tbDpT10_ENKUlT_T0_E_clISt17integral_constantIbLb1EES1A_EEDaS15_S16_EUlS15_E_NS1_11comp_targetILNS1_3genE2ELNS1_11target_archE906ELNS1_3gpuE6ELNS1_3repE0EEENS1_30default_config_static_selectorELNS0_4arch9wavefront6targetE1EEEvT1_,comdat
	.protected	_ZN7rocprim17ROCPRIM_400000_NS6detail17trampoline_kernelINS0_14default_configENS1_25partition_config_selectorILNS1_17partition_subalgoE9EiibEEZZNS1_14partition_implILS5_9ELb0ES3_jPKiN6thrust23THRUST_200600_302600_NS17counting_iteratorIiNSB_11use_defaultESD_SD_EEPNS0_10empty_typeENS0_5tupleIJPiSF_EEENSH_IJSI_SG_EEENS0_18inequality_wrapperIN6hipcub16HIPCUB_304000_NS8EqualityEEEPlJSF_EEE10hipError_tPvRmT3_T4_T5_T6_T7_T9_mT8_P12ihipStream_tbDpT10_ENKUlT_T0_E_clISt17integral_constantIbLb1EES1A_EEDaS15_S16_EUlS15_E_NS1_11comp_targetILNS1_3genE2ELNS1_11target_archE906ELNS1_3gpuE6ELNS1_3repE0EEENS1_30default_config_static_selectorELNS0_4arch9wavefront6targetE1EEEvT1_ ; -- Begin function _ZN7rocprim17ROCPRIM_400000_NS6detail17trampoline_kernelINS0_14default_configENS1_25partition_config_selectorILNS1_17partition_subalgoE9EiibEEZZNS1_14partition_implILS5_9ELb0ES3_jPKiN6thrust23THRUST_200600_302600_NS17counting_iteratorIiNSB_11use_defaultESD_SD_EEPNS0_10empty_typeENS0_5tupleIJPiSF_EEENSH_IJSI_SG_EEENS0_18inequality_wrapperIN6hipcub16HIPCUB_304000_NS8EqualityEEEPlJSF_EEE10hipError_tPvRmT3_T4_T5_T6_T7_T9_mT8_P12ihipStream_tbDpT10_ENKUlT_T0_E_clISt17integral_constantIbLb1EES1A_EEDaS15_S16_EUlS15_E_NS1_11comp_targetILNS1_3genE2ELNS1_11target_archE906ELNS1_3gpuE6ELNS1_3repE0EEENS1_30default_config_static_selectorELNS0_4arch9wavefront6targetE1EEEvT1_
	.globl	_ZN7rocprim17ROCPRIM_400000_NS6detail17trampoline_kernelINS0_14default_configENS1_25partition_config_selectorILNS1_17partition_subalgoE9EiibEEZZNS1_14partition_implILS5_9ELb0ES3_jPKiN6thrust23THRUST_200600_302600_NS17counting_iteratorIiNSB_11use_defaultESD_SD_EEPNS0_10empty_typeENS0_5tupleIJPiSF_EEENSH_IJSI_SG_EEENS0_18inequality_wrapperIN6hipcub16HIPCUB_304000_NS8EqualityEEEPlJSF_EEE10hipError_tPvRmT3_T4_T5_T6_T7_T9_mT8_P12ihipStream_tbDpT10_ENKUlT_T0_E_clISt17integral_constantIbLb1EES1A_EEDaS15_S16_EUlS15_E_NS1_11comp_targetILNS1_3genE2ELNS1_11target_archE906ELNS1_3gpuE6ELNS1_3repE0EEENS1_30default_config_static_selectorELNS0_4arch9wavefront6targetE1EEEvT1_
	.p2align	8
	.type	_ZN7rocprim17ROCPRIM_400000_NS6detail17trampoline_kernelINS0_14default_configENS1_25partition_config_selectorILNS1_17partition_subalgoE9EiibEEZZNS1_14partition_implILS5_9ELb0ES3_jPKiN6thrust23THRUST_200600_302600_NS17counting_iteratorIiNSB_11use_defaultESD_SD_EEPNS0_10empty_typeENS0_5tupleIJPiSF_EEENSH_IJSI_SG_EEENS0_18inequality_wrapperIN6hipcub16HIPCUB_304000_NS8EqualityEEEPlJSF_EEE10hipError_tPvRmT3_T4_T5_T6_T7_T9_mT8_P12ihipStream_tbDpT10_ENKUlT_T0_E_clISt17integral_constantIbLb1EES1A_EEDaS15_S16_EUlS15_E_NS1_11comp_targetILNS1_3genE2ELNS1_11target_archE906ELNS1_3gpuE6ELNS1_3repE0EEENS1_30default_config_static_selectorELNS0_4arch9wavefront6targetE1EEEvT1_,@function
_ZN7rocprim17ROCPRIM_400000_NS6detail17trampoline_kernelINS0_14default_configENS1_25partition_config_selectorILNS1_17partition_subalgoE9EiibEEZZNS1_14partition_implILS5_9ELb0ES3_jPKiN6thrust23THRUST_200600_302600_NS17counting_iteratorIiNSB_11use_defaultESD_SD_EEPNS0_10empty_typeENS0_5tupleIJPiSF_EEENSH_IJSI_SG_EEENS0_18inequality_wrapperIN6hipcub16HIPCUB_304000_NS8EqualityEEEPlJSF_EEE10hipError_tPvRmT3_T4_T5_T6_T7_T9_mT8_P12ihipStream_tbDpT10_ENKUlT_T0_E_clISt17integral_constantIbLb1EES1A_EEDaS15_S16_EUlS15_E_NS1_11comp_targetILNS1_3genE2ELNS1_11target_archE906ELNS1_3gpuE6ELNS1_3repE0EEENS1_30default_config_static_selectorELNS0_4arch9wavefront6targetE1EEEvT1_: ; @_ZN7rocprim17ROCPRIM_400000_NS6detail17trampoline_kernelINS0_14default_configENS1_25partition_config_selectorILNS1_17partition_subalgoE9EiibEEZZNS1_14partition_implILS5_9ELb0ES3_jPKiN6thrust23THRUST_200600_302600_NS17counting_iteratorIiNSB_11use_defaultESD_SD_EEPNS0_10empty_typeENS0_5tupleIJPiSF_EEENSH_IJSI_SG_EEENS0_18inequality_wrapperIN6hipcub16HIPCUB_304000_NS8EqualityEEEPlJSF_EEE10hipError_tPvRmT3_T4_T5_T6_T7_T9_mT8_P12ihipStream_tbDpT10_ENKUlT_T0_E_clISt17integral_constantIbLb1EES1A_EEDaS15_S16_EUlS15_E_NS1_11comp_targetILNS1_3genE2ELNS1_11target_archE906ELNS1_3gpuE6ELNS1_3repE0EEENS1_30default_config_static_selectorELNS0_4arch9wavefront6targetE1EEEvT1_
; %bb.0:
	.section	.rodata,"a",@progbits
	.p2align	6, 0x0
	.amdhsa_kernel _ZN7rocprim17ROCPRIM_400000_NS6detail17trampoline_kernelINS0_14default_configENS1_25partition_config_selectorILNS1_17partition_subalgoE9EiibEEZZNS1_14partition_implILS5_9ELb0ES3_jPKiN6thrust23THRUST_200600_302600_NS17counting_iteratorIiNSB_11use_defaultESD_SD_EEPNS0_10empty_typeENS0_5tupleIJPiSF_EEENSH_IJSI_SG_EEENS0_18inequality_wrapperIN6hipcub16HIPCUB_304000_NS8EqualityEEEPlJSF_EEE10hipError_tPvRmT3_T4_T5_T6_T7_T9_mT8_P12ihipStream_tbDpT10_ENKUlT_T0_E_clISt17integral_constantIbLb1EES1A_EEDaS15_S16_EUlS15_E_NS1_11comp_targetILNS1_3genE2ELNS1_11target_archE906ELNS1_3gpuE6ELNS1_3repE0EEENS1_30default_config_static_selectorELNS0_4arch9wavefront6targetE1EEEvT1_
		.amdhsa_group_segment_fixed_size 0
		.amdhsa_private_segment_fixed_size 0
		.amdhsa_kernarg_size 128
		.amdhsa_user_sgpr_count 6
		.amdhsa_user_sgpr_private_segment_buffer 1
		.amdhsa_user_sgpr_dispatch_ptr 0
		.amdhsa_user_sgpr_queue_ptr 0
		.amdhsa_user_sgpr_kernarg_segment_ptr 1
		.amdhsa_user_sgpr_dispatch_id 0
		.amdhsa_user_sgpr_flat_scratch_init 0
		.amdhsa_user_sgpr_kernarg_preload_length 0
		.amdhsa_user_sgpr_kernarg_preload_offset 0
		.amdhsa_user_sgpr_private_segment_size 0
		.amdhsa_uses_dynamic_stack 0
		.amdhsa_system_sgpr_private_segment_wavefront_offset 0
		.amdhsa_system_sgpr_workgroup_id_x 1
		.amdhsa_system_sgpr_workgroup_id_y 0
		.amdhsa_system_sgpr_workgroup_id_z 0
		.amdhsa_system_sgpr_workgroup_info 0
		.amdhsa_system_vgpr_workitem_id 0
		.amdhsa_next_free_vgpr 1
		.amdhsa_next_free_sgpr 0
		.amdhsa_accum_offset 4
		.amdhsa_reserve_vcc 0
		.amdhsa_reserve_flat_scratch 0
		.amdhsa_float_round_mode_32 0
		.amdhsa_float_round_mode_16_64 0
		.amdhsa_float_denorm_mode_32 3
		.amdhsa_float_denorm_mode_16_64 3
		.amdhsa_dx10_clamp 1
		.amdhsa_ieee_mode 1
		.amdhsa_fp16_overflow 0
		.amdhsa_tg_split 0
		.amdhsa_exception_fp_ieee_invalid_op 0
		.amdhsa_exception_fp_denorm_src 0
		.amdhsa_exception_fp_ieee_div_zero 0
		.amdhsa_exception_fp_ieee_overflow 0
		.amdhsa_exception_fp_ieee_underflow 0
		.amdhsa_exception_fp_ieee_inexact 0
		.amdhsa_exception_int_div_zero 0
	.end_amdhsa_kernel
	.section	.text._ZN7rocprim17ROCPRIM_400000_NS6detail17trampoline_kernelINS0_14default_configENS1_25partition_config_selectorILNS1_17partition_subalgoE9EiibEEZZNS1_14partition_implILS5_9ELb0ES3_jPKiN6thrust23THRUST_200600_302600_NS17counting_iteratorIiNSB_11use_defaultESD_SD_EEPNS0_10empty_typeENS0_5tupleIJPiSF_EEENSH_IJSI_SG_EEENS0_18inequality_wrapperIN6hipcub16HIPCUB_304000_NS8EqualityEEEPlJSF_EEE10hipError_tPvRmT3_T4_T5_T6_T7_T9_mT8_P12ihipStream_tbDpT10_ENKUlT_T0_E_clISt17integral_constantIbLb1EES1A_EEDaS15_S16_EUlS15_E_NS1_11comp_targetILNS1_3genE2ELNS1_11target_archE906ELNS1_3gpuE6ELNS1_3repE0EEENS1_30default_config_static_selectorELNS0_4arch9wavefront6targetE1EEEvT1_,"axG",@progbits,_ZN7rocprim17ROCPRIM_400000_NS6detail17trampoline_kernelINS0_14default_configENS1_25partition_config_selectorILNS1_17partition_subalgoE9EiibEEZZNS1_14partition_implILS5_9ELb0ES3_jPKiN6thrust23THRUST_200600_302600_NS17counting_iteratorIiNSB_11use_defaultESD_SD_EEPNS0_10empty_typeENS0_5tupleIJPiSF_EEENSH_IJSI_SG_EEENS0_18inequality_wrapperIN6hipcub16HIPCUB_304000_NS8EqualityEEEPlJSF_EEE10hipError_tPvRmT3_T4_T5_T6_T7_T9_mT8_P12ihipStream_tbDpT10_ENKUlT_T0_E_clISt17integral_constantIbLb1EES1A_EEDaS15_S16_EUlS15_E_NS1_11comp_targetILNS1_3genE2ELNS1_11target_archE906ELNS1_3gpuE6ELNS1_3repE0EEENS1_30default_config_static_selectorELNS0_4arch9wavefront6targetE1EEEvT1_,comdat
.Lfunc_end22:
	.size	_ZN7rocprim17ROCPRIM_400000_NS6detail17trampoline_kernelINS0_14default_configENS1_25partition_config_selectorILNS1_17partition_subalgoE9EiibEEZZNS1_14partition_implILS5_9ELb0ES3_jPKiN6thrust23THRUST_200600_302600_NS17counting_iteratorIiNSB_11use_defaultESD_SD_EEPNS0_10empty_typeENS0_5tupleIJPiSF_EEENSH_IJSI_SG_EEENS0_18inequality_wrapperIN6hipcub16HIPCUB_304000_NS8EqualityEEEPlJSF_EEE10hipError_tPvRmT3_T4_T5_T6_T7_T9_mT8_P12ihipStream_tbDpT10_ENKUlT_T0_E_clISt17integral_constantIbLb1EES1A_EEDaS15_S16_EUlS15_E_NS1_11comp_targetILNS1_3genE2ELNS1_11target_archE906ELNS1_3gpuE6ELNS1_3repE0EEENS1_30default_config_static_selectorELNS0_4arch9wavefront6targetE1EEEvT1_, .Lfunc_end22-_ZN7rocprim17ROCPRIM_400000_NS6detail17trampoline_kernelINS0_14default_configENS1_25partition_config_selectorILNS1_17partition_subalgoE9EiibEEZZNS1_14partition_implILS5_9ELb0ES3_jPKiN6thrust23THRUST_200600_302600_NS17counting_iteratorIiNSB_11use_defaultESD_SD_EEPNS0_10empty_typeENS0_5tupleIJPiSF_EEENSH_IJSI_SG_EEENS0_18inequality_wrapperIN6hipcub16HIPCUB_304000_NS8EqualityEEEPlJSF_EEE10hipError_tPvRmT3_T4_T5_T6_T7_T9_mT8_P12ihipStream_tbDpT10_ENKUlT_T0_E_clISt17integral_constantIbLb1EES1A_EEDaS15_S16_EUlS15_E_NS1_11comp_targetILNS1_3genE2ELNS1_11target_archE906ELNS1_3gpuE6ELNS1_3repE0EEENS1_30default_config_static_selectorELNS0_4arch9wavefront6targetE1EEEvT1_
                                        ; -- End function
	.section	.AMDGPU.csdata,"",@progbits
; Kernel info:
; codeLenInByte = 0
; NumSgprs: 4
; NumVgprs: 0
; NumAgprs: 0
; TotalNumVgprs: 0
; ScratchSize: 0
; MemoryBound: 0
; FloatMode: 240
; IeeeMode: 1
; LDSByteSize: 0 bytes/workgroup (compile time only)
; SGPRBlocks: 0
; VGPRBlocks: 0
; NumSGPRsForWavesPerEU: 4
; NumVGPRsForWavesPerEU: 1
; AccumOffset: 4
; Occupancy: 8
; WaveLimiterHint : 0
; COMPUTE_PGM_RSRC2:SCRATCH_EN: 0
; COMPUTE_PGM_RSRC2:USER_SGPR: 6
; COMPUTE_PGM_RSRC2:TRAP_HANDLER: 0
; COMPUTE_PGM_RSRC2:TGID_X_EN: 1
; COMPUTE_PGM_RSRC2:TGID_Y_EN: 0
; COMPUTE_PGM_RSRC2:TGID_Z_EN: 0
; COMPUTE_PGM_RSRC2:TIDIG_COMP_CNT: 0
; COMPUTE_PGM_RSRC3_GFX90A:ACCUM_OFFSET: 0
; COMPUTE_PGM_RSRC3_GFX90A:TG_SPLIT: 0
	.section	.text._ZN7rocprim17ROCPRIM_400000_NS6detail17trampoline_kernelINS0_14default_configENS1_25partition_config_selectorILNS1_17partition_subalgoE9EiibEEZZNS1_14partition_implILS5_9ELb0ES3_jPKiN6thrust23THRUST_200600_302600_NS17counting_iteratorIiNSB_11use_defaultESD_SD_EEPNS0_10empty_typeENS0_5tupleIJPiSF_EEENSH_IJSI_SG_EEENS0_18inequality_wrapperIN6hipcub16HIPCUB_304000_NS8EqualityEEEPlJSF_EEE10hipError_tPvRmT3_T4_T5_T6_T7_T9_mT8_P12ihipStream_tbDpT10_ENKUlT_T0_E_clISt17integral_constantIbLb1EES1A_EEDaS15_S16_EUlS15_E_NS1_11comp_targetILNS1_3genE10ELNS1_11target_archE1200ELNS1_3gpuE4ELNS1_3repE0EEENS1_30default_config_static_selectorELNS0_4arch9wavefront6targetE1EEEvT1_,"axG",@progbits,_ZN7rocprim17ROCPRIM_400000_NS6detail17trampoline_kernelINS0_14default_configENS1_25partition_config_selectorILNS1_17partition_subalgoE9EiibEEZZNS1_14partition_implILS5_9ELb0ES3_jPKiN6thrust23THRUST_200600_302600_NS17counting_iteratorIiNSB_11use_defaultESD_SD_EEPNS0_10empty_typeENS0_5tupleIJPiSF_EEENSH_IJSI_SG_EEENS0_18inequality_wrapperIN6hipcub16HIPCUB_304000_NS8EqualityEEEPlJSF_EEE10hipError_tPvRmT3_T4_T5_T6_T7_T9_mT8_P12ihipStream_tbDpT10_ENKUlT_T0_E_clISt17integral_constantIbLb1EES1A_EEDaS15_S16_EUlS15_E_NS1_11comp_targetILNS1_3genE10ELNS1_11target_archE1200ELNS1_3gpuE4ELNS1_3repE0EEENS1_30default_config_static_selectorELNS0_4arch9wavefront6targetE1EEEvT1_,comdat
	.protected	_ZN7rocprim17ROCPRIM_400000_NS6detail17trampoline_kernelINS0_14default_configENS1_25partition_config_selectorILNS1_17partition_subalgoE9EiibEEZZNS1_14partition_implILS5_9ELb0ES3_jPKiN6thrust23THRUST_200600_302600_NS17counting_iteratorIiNSB_11use_defaultESD_SD_EEPNS0_10empty_typeENS0_5tupleIJPiSF_EEENSH_IJSI_SG_EEENS0_18inequality_wrapperIN6hipcub16HIPCUB_304000_NS8EqualityEEEPlJSF_EEE10hipError_tPvRmT3_T4_T5_T6_T7_T9_mT8_P12ihipStream_tbDpT10_ENKUlT_T0_E_clISt17integral_constantIbLb1EES1A_EEDaS15_S16_EUlS15_E_NS1_11comp_targetILNS1_3genE10ELNS1_11target_archE1200ELNS1_3gpuE4ELNS1_3repE0EEENS1_30default_config_static_selectorELNS0_4arch9wavefront6targetE1EEEvT1_ ; -- Begin function _ZN7rocprim17ROCPRIM_400000_NS6detail17trampoline_kernelINS0_14default_configENS1_25partition_config_selectorILNS1_17partition_subalgoE9EiibEEZZNS1_14partition_implILS5_9ELb0ES3_jPKiN6thrust23THRUST_200600_302600_NS17counting_iteratorIiNSB_11use_defaultESD_SD_EEPNS0_10empty_typeENS0_5tupleIJPiSF_EEENSH_IJSI_SG_EEENS0_18inequality_wrapperIN6hipcub16HIPCUB_304000_NS8EqualityEEEPlJSF_EEE10hipError_tPvRmT3_T4_T5_T6_T7_T9_mT8_P12ihipStream_tbDpT10_ENKUlT_T0_E_clISt17integral_constantIbLb1EES1A_EEDaS15_S16_EUlS15_E_NS1_11comp_targetILNS1_3genE10ELNS1_11target_archE1200ELNS1_3gpuE4ELNS1_3repE0EEENS1_30default_config_static_selectorELNS0_4arch9wavefront6targetE1EEEvT1_
	.globl	_ZN7rocprim17ROCPRIM_400000_NS6detail17trampoline_kernelINS0_14default_configENS1_25partition_config_selectorILNS1_17partition_subalgoE9EiibEEZZNS1_14partition_implILS5_9ELb0ES3_jPKiN6thrust23THRUST_200600_302600_NS17counting_iteratorIiNSB_11use_defaultESD_SD_EEPNS0_10empty_typeENS0_5tupleIJPiSF_EEENSH_IJSI_SG_EEENS0_18inequality_wrapperIN6hipcub16HIPCUB_304000_NS8EqualityEEEPlJSF_EEE10hipError_tPvRmT3_T4_T5_T6_T7_T9_mT8_P12ihipStream_tbDpT10_ENKUlT_T0_E_clISt17integral_constantIbLb1EES1A_EEDaS15_S16_EUlS15_E_NS1_11comp_targetILNS1_3genE10ELNS1_11target_archE1200ELNS1_3gpuE4ELNS1_3repE0EEENS1_30default_config_static_selectorELNS0_4arch9wavefront6targetE1EEEvT1_
	.p2align	8
	.type	_ZN7rocprim17ROCPRIM_400000_NS6detail17trampoline_kernelINS0_14default_configENS1_25partition_config_selectorILNS1_17partition_subalgoE9EiibEEZZNS1_14partition_implILS5_9ELb0ES3_jPKiN6thrust23THRUST_200600_302600_NS17counting_iteratorIiNSB_11use_defaultESD_SD_EEPNS0_10empty_typeENS0_5tupleIJPiSF_EEENSH_IJSI_SG_EEENS0_18inequality_wrapperIN6hipcub16HIPCUB_304000_NS8EqualityEEEPlJSF_EEE10hipError_tPvRmT3_T4_T5_T6_T7_T9_mT8_P12ihipStream_tbDpT10_ENKUlT_T0_E_clISt17integral_constantIbLb1EES1A_EEDaS15_S16_EUlS15_E_NS1_11comp_targetILNS1_3genE10ELNS1_11target_archE1200ELNS1_3gpuE4ELNS1_3repE0EEENS1_30default_config_static_selectorELNS0_4arch9wavefront6targetE1EEEvT1_,@function
_ZN7rocprim17ROCPRIM_400000_NS6detail17trampoline_kernelINS0_14default_configENS1_25partition_config_selectorILNS1_17partition_subalgoE9EiibEEZZNS1_14partition_implILS5_9ELb0ES3_jPKiN6thrust23THRUST_200600_302600_NS17counting_iteratorIiNSB_11use_defaultESD_SD_EEPNS0_10empty_typeENS0_5tupleIJPiSF_EEENSH_IJSI_SG_EEENS0_18inequality_wrapperIN6hipcub16HIPCUB_304000_NS8EqualityEEEPlJSF_EEE10hipError_tPvRmT3_T4_T5_T6_T7_T9_mT8_P12ihipStream_tbDpT10_ENKUlT_T0_E_clISt17integral_constantIbLb1EES1A_EEDaS15_S16_EUlS15_E_NS1_11comp_targetILNS1_3genE10ELNS1_11target_archE1200ELNS1_3gpuE4ELNS1_3repE0EEENS1_30default_config_static_selectorELNS0_4arch9wavefront6targetE1EEEvT1_: ; @_ZN7rocprim17ROCPRIM_400000_NS6detail17trampoline_kernelINS0_14default_configENS1_25partition_config_selectorILNS1_17partition_subalgoE9EiibEEZZNS1_14partition_implILS5_9ELb0ES3_jPKiN6thrust23THRUST_200600_302600_NS17counting_iteratorIiNSB_11use_defaultESD_SD_EEPNS0_10empty_typeENS0_5tupleIJPiSF_EEENSH_IJSI_SG_EEENS0_18inequality_wrapperIN6hipcub16HIPCUB_304000_NS8EqualityEEEPlJSF_EEE10hipError_tPvRmT3_T4_T5_T6_T7_T9_mT8_P12ihipStream_tbDpT10_ENKUlT_T0_E_clISt17integral_constantIbLb1EES1A_EEDaS15_S16_EUlS15_E_NS1_11comp_targetILNS1_3genE10ELNS1_11target_archE1200ELNS1_3gpuE4ELNS1_3repE0EEENS1_30default_config_static_selectorELNS0_4arch9wavefront6targetE1EEEvT1_
; %bb.0:
	.section	.rodata,"a",@progbits
	.p2align	6, 0x0
	.amdhsa_kernel _ZN7rocprim17ROCPRIM_400000_NS6detail17trampoline_kernelINS0_14default_configENS1_25partition_config_selectorILNS1_17partition_subalgoE9EiibEEZZNS1_14partition_implILS5_9ELb0ES3_jPKiN6thrust23THRUST_200600_302600_NS17counting_iteratorIiNSB_11use_defaultESD_SD_EEPNS0_10empty_typeENS0_5tupleIJPiSF_EEENSH_IJSI_SG_EEENS0_18inequality_wrapperIN6hipcub16HIPCUB_304000_NS8EqualityEEEPlJSF_EEE10hipError_tPvRmT3_T4_T5_T6_T7_T9_mT8_P12ihipStream_tbDpT10_ENKUlT_T0_E_clISt17integral_constantIbLb1EES1A_EEDaS15_S16_EUlS15_E_NS1_11comp_targetILNS1_3genE10ELNS1_11target_archE1200ELNS1_3gpuE4ELNS1_3repE0EEENS1_30default_config_static_selectorELNS0_4arch9wavefront6targetE1EEEvT1_
		.amdhsa_group_segment_fixed_size 0
		.amdhsa_private_segment_fixed_size 0
		.amdhsa_kernarg_size 128
		.amdhsa_user_sgpr_count 6
		.amdhsa_user_sgpr_private_segment_buffer 1
		.amdhsa_user_sgpr_dispatch_ptr 0
		.amdhsa_user_sgpr_queue_ptr 0
		.amdhsa_user_sgpr_kernarg_segment_ptr 1
		.amdhsa_user_sgpr_dispatch_id 0
		.amdhsa_user_sgpr_flat_scratch_init 0
		.amdhsa_user_sgpr_kernarg_preload_length 0
		.amdhsa_user_sgpr_kernarg_preload_offset 0
		.amdhsa_user_sgpr_private_segment_size 0
		.amdhsa_uses_dynamic_stack 0
		.amdhsa_system_sgpr_private_segment_wavefront_offset 0
		.amdhsa_system_sgpr_workgroup_id_x 1
		.amdhsa_system_sgpr_workgroup_id_y 0
		.amdhsa_system_sgpr_workgroup_id_z 0
		.amdhsa_system_sgpr_workgroup_info 0
		.amdhsa_system_vgpr_workitem_id 0
		.amdhsa_next_free_vgpr 1
		.amdhsa_next_free_sgpr 0
		.amdhsa_accum_offset 4
		.amdhsa_reserve_vcc 0
		.amdhsa_reserve_flat_scratch 0
		.amdhsa_float_round_mode_32 0
		.amdhsa_float_round_mode_16_64 0
		.amdhsa_float_denorm_mode_32 3
		.amdhsa_float_denorm_mode_16_64 3
		.amdhsa_dx10_clamp 1
		.amdhsa_ieee_mode 1
		.amdhsa_fp16_overflow 0
		.amdhsa_tg_split 0
		.amdhsa_exception_fp_ieee_invalid_op 0
		.amdhsa_exception_fp_denorm_src 0
		.amdhsa_exception_fp_ieee_div_zero 0
		.amdhsa_exception_fp_ieee_overflow 0
		.amdhsa_exception_fp_ieee_underflow 0
		.amdhsa_exception_fp_ieee_inexact 0
		.amdhsa_exception_int_div_zero 0
	.end_amdhsa_kernel
	.section	.text._ZN7rocprim17ROCPRIM_400000_NS6detail17trampoline_kernelINS0_14default_configENS1_25partition_config_selectorILNS1_17partition_subalgoE9EiibEEZZNS1_14partition_implILS5_9ELb0ES3_jPKiN6thrust23THRUST_200600_302600_NS17counting_iteratorIiNSB_11use_defaultESD_SD_EEPNS0_10empty_typeENS0_5tupleIJPiSF_EEENSH_IJSI_SG_EEENS0_18inequality_wrapperIN6hipcub16HIPCUB_304000_NS8EqualityEEEPlJSF_EEE10hipError_tPvRmT3_T4_T5_T6_T7_T9_mT8_P12ihipStream_tbDpT10_ENKUlT_T0_E_clISt17integral_constantIbLb1EES1A_EEDaS15_S16_EUlS15_E_NS1_11comp_targetILNS1_3genE10ELNS1_11target_archE1200ELNS1_3gpuE4ELNS1_3repE0EEENS1_30default_config_static_selectorELNS0_4arch9wavefront6targetE1EEEvT1_,"axG",@progbits,_ZN7rocprim17ROCPRIM_400000_NS6detail17trampoline_kernelINS0_14default_configENS1_25partition_config_selectorILNS1_17partition_subalgoE9EiibEEZZNS1_14partition_implILS5_9ELb0ES3_jPKiN6thrust23THRUST_200600_302600_NS17counting_iteratorIiNSB_11use_defaultESD_SD_EEPNS0_10empty_typeENS0_5tupleIJPiSF_EEENSH_IJSI_SG_EEENS0_18inequality_wrapperIN6hipcub16HIPCUB_304000_NS8EqualityEEEPlJSF_EEE10hipError_tPvRmT3_T4_T5_T6_T7_T9_mT8_P12ihipStream_tbDpT10_ENKUlT_T0_E_clISt17integral_constantIbLb1EES1A_EEDaS15_S16_EUlS15_E_NS1_11comp_targetILNS1_3genE10ELNS1_11target_archE1200ELNS1_3gpuE4ELNS1_3repE0EEENS1_30default_config_static_selectorELNS0_4arch9wavefront6targetE1EEEvT1_,comdat
.Lfunc_end23:
	.size	_ZN7rocprim17ROCPRIM_400000_NS6detail17trampoline_kernelINS0_14default_configENS1_25partition_config_selectorILNS1_17partition_subalgoE9EiibEEZZNS1_14partition_implILS5_9ELb0ES3_jPKiN6thrust23THRUST_200600_302600_NS17counting_iteratorIiNSB_11use_defaultESD_SD_EEPNS0_10empty_typeENS0_5tupleIJPiSF_EEENSH_IJSI_SG_EEENS0_18inequality_wrapperIN6hipcub16HIPCUB_304000_NS8EqualityEEEPlJSF_EEE10hipError_tPvRmT3_T4_T5_T6_T7_T9_mT8_P12ihipStream_tbDpT10_ENKUlT_T0_E_clISt17integral_constantIbLb1EES1A_EEDaS15_S16_EUlS15_E_NS1_11comp_targetILNS1_3genE10ELNS1_11target_archE1200ELNS1_3gpuE4ELNS1_3repE0EEENS1_30default_config_static_selectorELNS0_4arch9wavefront6targetE1EEEvT1_, .Lfunc_end23-_ZN7rocprim17ROCPRIM_400000_NS6detail17trampoline_kernelINS0_14default_configENS1_25partition_config_selectorILNS1_17partition_subalgoE9EiibEEZZNS1_14partition_implILS5_9ELb0ES3_jPKiN6thrust23THRUST_200600_302600_NS17counting_iteratorIiNSB_11use_defaultESD_SD_EEPNS0_10empty_typeENS0_5tupleIJPiSF_EEENSH_IJSI_SG_EEENS0_18inequality_wrapperIN6hipcub16HIPCUB_304000_NS8EqualityEEEPlJSF_EEE10hipError_tPvRmT3_T4_T5_T6_T7_T9_mT8_P12ihipStream_tbDpT10_ENKUlT_T0_E_clISt17integral_constantIbLb1EES1A_EEDaS15_S16_EUlS15_E_NS1_11comp_targetILNS1_3genE10ELNS1_11target_archE1200ELNS1_3gpuE4ELNS1_3repE0EEENS1_30default_config_static_selectorELNS0_4arch9wavefront6targetE1EEEvT1_
                                        ; -- End function
	.section	.AMDGPU.csdata,"",@progbits
; Kernel info:
; codeLenInByte = 0
; NumSgprs: 4
; NumVgprs: 0
; NumAgprs: 0
; TotalNumVgprs: 0
; ScratchSize: 0
; MemoryBound: 0
; FloatMode: 240
; IeeeMode: 1
; LDSByteSize: 0 bytes/workgroup (compile time only)
; SGPRBlocks: 0
; VGPRBlocks: 0
; NumSGPRsForWavesPerEU: 4
; NumVGPRsForWavesPerEU: 1
; AccumOffset: 4
; Occupancy: 8
; WaveLimiterHint : 0
; COMPUTE_PGM_RSRC2:SCRATCH_EN: 0
; COMPUTE_PGM_RSRC2:USER_SGPR: 6
; COMPUTE_PGM_RSRC2:TRAP_HANDLER: 0
; COMPUTE_PGM_RSRC2:TGID_X_EN: 1
; COMPUTE_PGM_RSRC2:TGID_Y_EN: 0
; COMPUTE_PGM_RSRC2:TGID_Z_EN: 0
; COMPUTE_PGM_RSRC2:TIDIG_COMP_CNT: 0
; COMPUTE_PGM_RSRC3_GFX90A:ACCUM_OFFSET: 0
; COMPUTE_PGM_RSRC3_GFX90A:TG_SPLIT: 0
	.section	.text._ZN7rocprim17ROCPRIM_400000_NS6detail17trampoline_kernelINS0_14default_configENS1_25partition_config_selectorILNS1_17partition_subalgoE9EiibEEZZNS1_14partition_implILS5_9ELb0ES3_jPKiN6thrust23THRUST_200600_302600_NS17counting_iteratorIiNSB_11use_defaultESD_SD_EEPNS0_10empty_typeENS0_5tupleIJPiSF_EEENSH_IJSI_SG_EEENS0_18inequality_wrapperIN6hipcub16HIPCUB_304000_NS8EqualityEEEPlJSF_EEE10hipError_tPvRmT3_T4_T5_T6_T7_T9_mT8_P12ihipStream_tbDpT10_ENKUlT_T0_E_clISt17integral_constantIbLb1EES1A_EEDaS15_S16_EUlS15_E_NS1_11comp_targetILNS1_3genE9ELNS1_11target_archE1100ELNS1_3gpuE3ELNS1_3repE0EEENS1_30default_config_static_selectorELNS0_4arch9wavefront6targetE1EEEvT1_,"axG",@progbits,_ZN7rocprim17ROCPRIM_400000_NS6detail17trampoline_kernelINS0_14default_configENS1_25partition_config_selectorILNS1_17partition_subalgoE9EiibEEZZNS1_14partition_implILS5_9ELb0ES3_jPKiN6thrust23THRUST_200600_302600_NS17counting_iteratorIiNSB_11use_defaultESD_SD_EEPNS0_10empty_typeENS0_5tupleIJPiSF_EEENSH_IJSI_SG_EEENS0_18inequality_wrapperIN6hipcub16HIPCUB_304000_NS8EqualityEEEPlJSF_EEE10hipError_tPvRmT3_T4_T5_T6_T7_T9_mT8_P12ihipStream_tbDpT10_ENKUlT_T0_E_clISt17integral_constantIbLb1EES1A_EEDaS15_S16_EUlS15_E_NS1_11comp_targetILNS1_3genE9ELNS1_11target_archE1100ELNS1_3gpuE3ELNS1_3repE0EEENS1_30default_config_static_selectorELNS0_4arch9wavefront6targetE1EEEvT1_,comdat
	.protected	_ZN7rocprim17ROCPRIM_400000_NS6detail17trampoline_kernelINS0_14default_configENS1_25partition_config_selectorILNS1_17partition_subalgoE9EiibEEZZNS1_14partition_implILS5_9ELb0ES3_jPKiN6thrust23THRUST_200600_302600_NS17counting_iteratorIiNSB_11use_defaultESD_SD_EEPNS0_10empty_typeENS0_5tupleIJPiSF_EEENSH_IJSI_SG_EEENS0_18inequality_wrapperIN6hipcub16HIPCUB_304000_NS8EqualityEEEPlJSF_EEE10hipError_tPvRmT3_T4_T5_T6_T7_T9_mT8_P12ihipStream_tbDpT10_ENKUlT_T0_E_clISt17integral_constantIbLb1EES1A_EEDaS15_S16_EUlS15_E_NS1_11comp_targetILNS1_3genE9ELNS1_11target_archE1100ELNS1_3gpuE3ELNS1_3repE0EEENS1_30default_config_static_selectorELNS0_4arch9wavefront6targetE1EEEvT1_ ; -- Begin function _ZN7rocprim17ROCPRIM_400000_NS6detail17trampoline_kernelINS0_14default_configENS1_25partition_config_selectorILNS1_17partition_subalgoE9EiibEEZZNS1_14partition_implILS5_9ELb0ES3_jPKiN6thrust23THRUST_200600_302600_NS17counting_iteratorIiNSB_11use_defaultESD_SD_EEPNS0_10empty_typeENS0_5tupleIJPiSF_EEENSH_IJSI_SG_EEENS0_18inequality_wrapperIN6hipcub16HIPCUB_304000_NS8EqualityEEEPlJSF_EEE10hipError_tPvRmT3_T4_T5_T6_T7_T9_mT8_P12ihipStream_tbDpT10_ENKUlT_T0_E_clISt17integral_constantIbLb1EES1A_EEDaS15_S16_EUlS15_E_NS1_11comp_targetILNS1_3genE9ELNS1_11target_archE1100ELNS1_3gpuE3ELNS1_3repE0EEENS1_30default_config_static_selectorELNS0_4arch9wavefront6targetE1EEEvT1_
	.globl	_ZN7rocprim17ROCPRIM_400000_NS6detail17trampoline_kernelINS0_14default_configENS1_25partition_config_selectorILNS1_17partition_subalgoE9EiibEEZZNS1_14partition_implILS5_9ELb0ES3_jPKiN6thrust23THRUST_200600_302600_NS17counting_iteratorIiNSB_11use_defaultESD_SD_EEPNS0_10empty_typeENS0_5tupleIJPiSF_EEENSH_IJSI_SG_EEENS0_18inequality_wrapperIN6hipcub16HIPCUB_304000_NS8EqualityEEEPlJSF_EEE10hipError_tPvRmT3_T4_T5_T6_T7_T9_mT8_P12ihipStream_tbDpT10_ENKUlT_T0_E_clISt17integral_constantIbLb1EES1A_EEDaS15_S16_EUlS15_E_NS1_11comp_targetILNS1_3genE9ELNS1_11target_archE1100ELNS1_3gpuE3ELNS1_3repE0EEENS1_30default_config_static_selectorELNS0_4arch9wavefront6targetE1EEEvT1_
	.p2align	8
	.type	_ZN7rocprim17ROCPRIM_400000_NS6detail17trampoline_kernelINS0_14default_configENS1_25partition_config_selectorILNS1_17partition_subalgoE9EiibEEZZNS1_14partition_implILS5_9ELb0ES3_jPKiN6thrust23THRUST_200600_302600_NS17counting_iteratorIiNSB_11use_defaultESD_SD_EEPNS0_10empty_typeENS0_5tupleIJPiSF_EEENSH_IJSI_SG_EEENS0_18inequality_wrapperIN6hipcub16HIPCUB_304000_NS8EqualityEEEPlJSF_EEE10hipError_tPvRmT3_T4_T5_T6_T7_T9_mT8_P12ihipStream_tbDpT10_ENKUlT_T0_E_clISt17integral_constantIbLb1EES1A_EEDaS15_S16_EUlS15_E_NS1_11comp_targetILNS1_3genE9ELNS1_11target_archE1100ELNS1_3gpuE3ELNS1_3repE0EEENS1_30default_config_static_selectorELNS0_4arch9wavefront6targetE1EEEvT1_,@function
_ZN7rocprim17ROCPRIM_400000_NS6detail17trampoline_kernelINS0_14default_configENS1_25partition_config_selectorILNS1_17partition_subalgoE9EiibEEZZNS1_14partition_implILS5_9ELb0ES3_jPKiN6thrust23THRUST_200600_302600_NS17counting_iteratorIiNSB_11use_defaultESD_SD_EEPNS0_10empty_typeENS0_5tupleIJPiSF_EEENSH_IJSI_SG_EEENS0_18inequality_wrapperIN6hipcub16HIPCUB_304000_NS8EqualityEEEPlJSF_EEE10hipError_tPvRmT3_T4_T5_T6_T7_T9_mT8_P12ihipStream_tbDpT10_ENKUlT_T0_E_clISt17integral_constantIbLb1EES1A_EEDaS15_S16_EUlS15_E_NS1_11comp_targetILNS1_3genE9ELNS1_11target_archE1100ELNS1_3gpuE3ELNS1_3repE0EEENS1_30default_config_static_selectorELNS0_4arch9wavefront6targetE1EEEvT1_: ; @_ZN7rocprim17ROCPRIM_400000_NS6detail17trampoline_kernelINS0_14default_configENS1_25partition_config_selectorILNS1_17partition_subalgoE9EiibEEZZNS1_14partition_implILS5_9ELb0ES3_jPKiN6thrust23THRUST_200600_302600_NS17counting_iteratorIiNSB_11use_defaultESD_SD_EEPNS0_10empty_typeENS0_5tupleIJPiSF_EEENSH_IJSI_SG_EEENS0_18inequality_wrapperIN6hipcub16HIPCUB_304000_NS8EqualityEEEPlJSF_EEE10hipError_tPvRmT3_T4_T5_T6_T7_T9_mT8_P12ihipStream_tbDpT10_ENKUlT_T0_E_clISt17integral_constantIbLb1EES1A_EEDaS15_S16_EUlS15_E_NS1_11comp_targetILNS1_3genE9ELNS1_11target_archE1100ELNS1_3gpuE3ELNS1_3repE0EEENS1_30default_config_static_selectorELNS0_4arch9wavefront6targetE1EEEvT1_
; %bb.0:
	.section	.rodata,"a",@progbits
	.p2align	6, 0x0
	.amdhsa_kernel _ZN7rocprim17ROCPRIM_400000_NS6detail17trampoline_kernelINS0_14default_configENS1_25partition_config_selectorILNS1_17partition_subalgoE9EiibEEZZNS1_14partition_implILS5_9ELb0ES3_jPKiN6thrust23THRUST_200600_302600_NS17counting_iteratorIiNSB_11use_defaultESD_SD_EEPNS0_10empty_typeENS0_5tupleIJPiSF_EEENSH_IJSI_SG_EEENS0_18inequality_wrapperIN6hipcub16HIPCUB_304000_NS8EqualityEEEPlJSF_EEE10hipError_tPvRmT3_T4_T5_T6_T7_T9_mT8_P12ihipStream_tbDpT10_ENKUlT_T0_E_clISt17integral_constantIbLb1EES1A_EEDaS15_S16_EUlS15_E_NS1_11comp_targetILNS1_3genE9ELNS1_11target_archE1100ELNS1_3gpuE3ELNS1_3repE0EEENS1_30default_config_static_selectorELNS0_4arch9wavefront6targetE1EEEvT1_
		.amdhsa_group_segment_fixed_size 0
		.amdhsa_private_segment_fixed_size 0
		.amdhsa_kernarg_size 128
		.amdhsa_user_sgpr_count 6
		.amdhsa_user_sgpr_private_segment_buffer 1
		.amdhsa_user_sgpr_dispatch_ptr 0
		.amdhsa_user_sgpr_queue_ptr 0
		.amdhsa_user_sgpr_kernarg_segment_ptr 1
		.amdhsa_user_sgpr_dispatch_id 0
		.amdhsa_user_sgpr_flat_scratch_init 0
		.amdhsa_user_sgpr_kernarg_preload_length 0
		.amdhsa_user_sgpr_kernarg_preload_offset 0
		.amdhsa_user_sgpr_private_segment_size 0
		.amdhsa_uses_dynamic_stack 0
		.amdhsa_system_sgpr_private_segment_wavefront_offset 0
		.amdhsa_system_sgpr_workgroup_id_x 1
		.amdhsa_system_sgpr_workgroup_id_y 0
		.amdhsa_system_sgpr_workgroup_id_z 0
		.amdhsa_system_sgpr_workgroup_info 0
		.amdhsa_system_vgpr_workitem_id 0
		.amdhsa_next_free_vgpr 1
		.amdhsa_next_free_sgpr 0
		.amdhsa_accum_offset 4
		.amdhsa_reserve_vcc 0
		.amdhsa_reserve_flat_scratch 0
		.amdhsa_float_round_mode_32 0
		.amdhsa_float_round_mode_16_64 0
		.amdhsa_float_denorm_mode_32 3
		.amdhsa_float_denorm_mode_16_64 3
		.amdhsa_dx10_clamp 1
		.amdhsa_ieee_mode 1
		.amdhsa_fp16_overflow 0
		.amdhsa_tg_split 0
		.amdhsa_exception_fp_ieee_invalid_op 0
		.amdhsa_exception_fp_denorm_src 0
		.amdhsa_exception_fp_ieee_div_zero 0
		.amdhsa_exception_fp_ieee_overflow 0
		.amdhsa_exception_fp_ieee_underflow 0
		.amdhsa_exception_fp_ieee_inexact 0
		.amdhsa_exception_int_div_zero 0
	.end_amdhsa_kernel
	.section	.text._ZN7rocprim17ROCPRIM_400000_NS6detail17trampoline_kernelINS0_14default_configENS1_25partition_config_selectorILNS1_17partition_subalgoE9EiibEEZZNS1_14partition_implILS5_9ELb0ES3_jPKiN6thrust23THRUST_200600_302600_NS17counting_iteratorIiNSB_11use_defaultESD_SD_EEPNS0_10empty_typeENS0_5tupleIJPiSF_EEENSH_IJSI_SG_EEENS0_18inequality_wrapperIN6hipcub16HIPCUB_304000_NS8EqualityEEEPlJSF_EEE10hipError_tPvRmT3_T4_T5_T6_T7_T9_mT8_P12ihipStream_tbDpT10_ENKUlT_T0_E_clISt17integral_constantIbLb1EES1A_EEDaS15_S16_EUlS15_E_NS1_11comp_targetILNS1_3genE9ELNS1_11target_archE1100ELNS1_3gpuE3ELNS1_3repE0EEENS1_30default_config_static_selectorELNS0_4arch9wavefront6targetE1EEEvT1_,"axG",@progbits,_ZN7rocprim17ROCPRIM_400000_NS6detail17trampoline_kernelINS0_14default_configENS1_25partition_config_selectorILNS1_17partition_subalgoE9EiibEEZZNS1_14partition_implILS5_9ELb0ES3_jPKiN6thrust23THRUST_200600_302600_NS17counting_iteratorIiNSB_11use_defaultESD_SD_EEPNS0_10empty_typeENS0_5tupleIJPiSF_EEENSH_IJSI_SG_EEENS0_18inequality_wrapperIN6hipcub16HIPCUB_304000_NS8EqualityEEEPlJSF_EEE10hipError_tPvRmT3_T4_T5_T6_T7_T9_mT8_P12ihipStream_tbDpT10_ENKUlT_T0_E_clISt17integral_constantIbLb1EES1A_EEDaS15_S16_EUlS15_E_NS1_11comp_targetILNS1_3genE9ELNS1_11target_archE1100ELNS1_3gpuE3ELNS1_3repE0EEENS1_30default_config_static_selectorELNS0_4arch9wavefront6targetE1EEEvT1_,comdat
.Lfunc_end24:
	.size	_ZN7rocprim17ROCPRIM_400000_NS6detail17trampoline_kernelINS0_14default_configENS1_25partition_config_selectorILNS1_17partition_subalgoE9EiibEEZZNS1_14partition_implILS5_9ELb0ES3_jPKiN6thrust23THRUST_200600_302600_NS17counting_iteratorIiNSB_11use_defaultESD_SD_EEPNS0_10empty_typeENS0_5tupleIJPiSF_EEENSH_IJSI_SG_EEENS0_18inequality_wrapperIN6hipcub16HIPCUB_304000_NS8EqualityEEEPlJSF_EEE10hipError_tPvRmT3_T4_T5_T6_T7_T9_mT8_P12ihipStream_tbDpT10_ENKUlT_T0_E_clISt17integral_constantIbLb1EES1A_EEDaS15_S16_EUlS15_E_NS1_11comp_targetILNS1_3genE9ELNS1_11target_archE1100ELNS1_3gpuE3ELNS1_3repE0EEENS1_30default_config_static_selectorELNS0_4arch9wavefront6targetE1EEEvT1_, .Lfunc_end24-_ZN7rocprim17ROCPRIM_400000_NS6detail17trampoline_kernelINS0_14default_configENS1_25partition_config_selectorILNS1_17partition_subalgoE9EiibEEZZNS1_14partition_implILS5_9ELb0ES3_jPKiN6thrust23THRUST_200600_302600_NS17counting_iteratorIiNSB_11use_defaultESD_SD_EEPNS0_10empty_typeENS0_5tupleIJPiSF_EEENSH_IJSI_SG_EEENS0_18inequality_wrapperIN6hipcub16HIPCUB_304000_NS8EqualityEEEPlJSF_EEE10hipError_tPvRmT3_T4_T5_T6_T7_T9_mT8_P12ihipStream_tbDpT10_ENKUlT_T0_E_clISt17integral_constantIbLb1EES1A_EEDaS15_S16_EUlS15_E_NS1_11comp_targetILNS1_3genE9ELNS1_11target_archE1100ELNS1_3gpuE3ELNS1_3repE0EEENS1_30default_config_static_selectorELNS0_4arch9wavefront6targetE1EEEvT1_
                                        ; -- End function
	.section	.AMDGPU.csdata,"",@progbits
; Kernel info:
; codeLenInByte = 0
; NumSgprs: 4
; NumVgprs: 0
; NumAgprs: 0
; TotalNumVgprs: 0
; ScratchSize: 0
; MemoryBound: 0
; FloatMode: 240
; IeeeMode: 1
; LDSByteSize: 0 bytes/workgroup (compile time only)
; SGPRBlocks: 0
; VGPRBlocks: 0
; NumSGPRsForWavesPerEU: 4
; NumVGPRsForWavesPerEU: 1
; AccumOffset: 4
; Occupancy: 8
; WaveLimiterHint : 0
; COMPUTE_PGM_RSRC2:SCRATCH_EN: 0
; COMPUTE_PGM_RSRC2:USER_SGPR: 6
; COMPUTE_PGM_RSRC2:TRAP_HANDLER: 0
; COMPUTE_PGM_RSRC2:TGID_X_EN: 1
; COMPUTE_PGM_RSRC2:TGID_Y_EN: 0
; COMPUTE_PGM_RSRC2:TGID_Z_EN: 0
; COMPUTE_PGM_RSRC2:TIDIG_COMP_CNT: 0
; COMPUTE_PGM_RSRC3_GFX90A:ACCUM_OFFSET: 0
; COMPUTE_PGM_RSRC3_GFX90A:TG_SPLIT: 0
	.section	.text._ZN7rocprim17ROCPRIM_400000_NS6detail17trampoline_kernelINS0_14default_configENS1_25partition_config_selectorILNS1_17partition_subalgoE9EiibEEZZNS1_14partition_implILS5_9ELb0ES3_jPKiN6thrust23THRUST_200600_302600_NS17counting_iteratorIiNSB_11use_defaultESD_SD_EEPNS0_10empty_typeENS0_5tupleIJPiSF_EEENSH_IJSI_SG_EEENS0_18inequality_wrapperIN6hipcub16HIPCUB_304000_NS8EqualityEEEPlJSF_EEE10hipError_tPvRmT3_T4_T5_T6_T7_T9_mT8_P12ihipStream_tbDpT10_ENKUlT_T0_E_clISt17integral_constantIbLb1EES1A_EEDaS15_S16_EUlS15_E_NS1_11comp_targetILNS1_3genE8ELNS1_11target_archE1030ELNS1_3gpuE2ELNS1_3repE0EEENS1_30default_config_static_selectorELNS0_4arch9wavefront6targetE1EEEvT1_,"axG",@progbits,_ZN7rocprim17ROCPRIM_400000_NS6detail17trampoline_kernelINS0_14default_configENS1_25partition_config_selectorILNS1_17partition_subalgoE9EiibEEZZNS1_14partition_implILS5_9ELb0ES3_jPKiN6thrust23THRUST_200600_302600_NS17counting_iteratorIiNSB_11use_defaultESD_SD_EEPNS0_10empty_typeENS0_5tupleIJPiSF_EEENSH_IJSI_SG_EEENS0_18inequality_wrapperIN6hipcub16HIPCUB_304000_NS8EqualityEEEPlJSF_EEE10hipError_tPvRmT3_T4_T5_T6_T7_T9_mT8_P12ihipStream_tbDpT10_ENKUlT_T0_E_clISt17integral_constantIbLb1EES1A_EEDaS15_S16_EUlS15_E_NS1_11comp_targetILNS1_3genE8ELNS1_11target_archE1030ELNS1_3gpuE2ELNS1_3repE0EEENS1_30default_config_static_selectorELNS0_4arch9wavefront6targetE1EEEvT1_,comdat
	.protected	_ZN7rocprim17ROCPRIM_400000_NS6detail17trampoline_kernelINS0_14default_configENS1_25partition_config_selectorILNS1_17partition_subalgoE9EiibEEZZNS1_14partition_implILS5_9ELb0ES3_jPKiN6thrust23THRUST_200600_302600_NS17counting_iteratorIiNSB_11use_defaultESD_SD_EEPNS0_10empty_typeENS0_5tupleIJPiSF_EEENSH_IJSI_SG_EEENS0_18inequality_wrapperIN6hipcub16HIPCUB_304000_NS8EqualityEEEPlJSF_EEE10hipError_tPvRmT3_T4_T5_T6_T7_T9_mT8_P12ihipStream_tbDpT10_ENKUlT_T0_E_clISt17integral_constantIbLb1EES1A_EEDaS15_S16_EUlS15_E_NS1_11comp_targetILNS1_3genE8ELNS1_11target_archE1030ELNS1_3gpuE2ELNS1_3repE0EEENS1_30default_config_static_selectorELNS0_4arch9wavefront6targetE1EEEvT1_ ; -- Begin function _ZN7rocprim17ROCPRIM_400000_NS6detail17trampoline_kernelINS0_14default_configENS1_25partition_config_selectorILNS1_17partition_subalgoE9EiibEEZZNS1_14partition_implILS5_9ELb0ES3_jPKiN6thrust23THRUST_200600_302600_NS17counting_iteratorIiNSB_11use_defaultESD_SD_EEPNS0_10empty_typeENS0_5tupleIJPiSF_EEENSH_IJSI_SG_EEENS0_18inequality_wrapperIN6hipcub16HIPCUB_304000_NS8EqualityEEEPlJSF_EEE10hipError_tPvRmT3_T4_T5_T6_T7_T9_mT8_P12ihipStream_tbDpT10_ENKUlT_T0_E_clISt17integral_constantIbLb1EES1A_EEDaS15_S16_EUlS15_E_NS1_11comp_targetILNS1_3genE8ELNS1_11target_archE1030ELNS1_3gpuE2ELNS1_3repE0EEENS1_30default_config_static_selectorELNS0_4arch9wavefront6targetE1EEEvT1_
	.globl	_ZN7rocprim17ROCPRIM_400000_NS6detail17trampoline_kernelINS0_14default_configENS1_25partition_config_selectorILNS1_17partition_subalgoE9EiibEEZZNS1_14partition_implILS5_9ELb0ES3_jPKiN6thrust23THRUST_200600_302600_NS17counting_iteratorIiNSB_11use_defaultESD_SD_EEPNS0_10empty_typeENS0_5tupleIJPiSF_EEENSH_IJSI_SG_EEENS0_18inequality_wrapperIN6hipcub16HIPCUB_304000_NS8EqualityEEEPlJSF_EEE10hipError_tPvRmT3_T4_T5_T6_T7_T9_mT8_P12ihipStream_tbDpT10_ENKUlT_T0_E_clISt17integral_constantIbLb1EES1A_EEDaS15_S16_EUlS15_E_NS1_11comp_targetILNS1_3genE8ELNS1_11target_archE1030ELNS1_3gpuE2ELNS1_3repE0EEENS1_30default_config_static_selectorELNS0_4arch9wavefront6targetE1EEEvT1_
	.p2align	8
	.type	_ZN7rocprim17ROCPRIM_400000_NS6detail17trampoline_kernelINS0_14default_configENS1_25partition_config_selectorILNS1_17partition_subalgoE9EiibEEZZNS1_14partition_implILS5_9ELb0ES3_jPKiN6thrust23THRUST_200600_302600_NS17counting_iteratorIiNSB_11use_defaultESD_SD_EEPNS0_10empty_typeENS0_5tupleIJPiSF_EEENSH_IJSI_SG_EEENS0_18inequality_wrapperIN6hipcub16HIPCUB_304000_NS8EqualityEEEPlJSF_EEE10hipError_tPvRmT3_T4_T5_T6_T7_T9_mT8_P12ihipStream_tbDpT10_ENKUlT_T0_E_clISt17integral_constantIbLb1EES1A_EEDaS15_S16_EUlS15_E_NS1_11comp_targetILNS1_3genE8ELNS1_11target_archE1030ELNS1_3gpuE2ELNS1_3repE0EEENS1_30default_config_static_selectorELNS0_4arch9wavefront6targetE1EEEvT1_,@function
_ZN7rocprim17ROCPRIM_400000_NS6detail17trampoline_kernelINS0_14default_configENS1_25partition_config_selectorILNS1_17partition_subalgoE9EiibEEZZNS1_14partition_implILS5_9ELb0ES3_jPKiN6thrust23THRUST_200600_302600_NS17counting_iteratorIiNSB_11use_defaultESD_SD_EEPNS0_10empty_typeENS0_5tupleIJPiSF_EEENSH_IJSI_SG_EEENS0_18inequality_wrapperIN6hipcub16HIPCUB_304000_NS8EqualityEEEPlJSF_EEE10hipError_tPvRmT3_T4_T5_T6_T7_T9_mT8_P12ihipStream_tbDpT10_ENKUlT_T0_E_clISt17integral_constantIbLb1EES1A_EEDaS15_S16_EUlS15_E_NS1_11comp_targetILNS1_3genE8ELNS1_11target_archE1030ELNS1_3gpuE2ELNS1_3repE0EEENS1_30default_config_static_selectorELNS0_4arch9wavefront6targetE1EEEvT1_: ; @_ZN7rocprim17ROCPRIM_400000_NS6detail17trampoline_kernelINS0_14default_configENS1_25partition_config_selectorILNS1_17partition_subalgoE9EiibEEZZNS1_14partition_implILS5_9ELb0ES3_jPKiN6thrust23THRUST_200600_302600_NS17counting_iteratorIiNSB_11use_defaultESD_SD_EEPNS0_10empty_typeENS0_5tupleIJPiSF_EEENSH_IJSI_SG_EEENS0_18inequality_wrapperIN6hipcub16HIPCUB_304000_NS8EqualityEEEPlJSF_EEE10hipError_tPvRmT3_T4_T5_T6_T7_T9_mT8_P12ihipStream_tbDpT10_ENKUlT_T0_E_clISt17integral_constantIbLb1EES1A_EEDaS15_S16_EUlS15_E_NS1_11comp_targetILNS1_3genE8ELNS1_11target_archE1030ELNS1_3gpuE2ELNS1_3repE0EEENS1_30default_config_static_selectorELNS0_4arch9wavefront6targetE1EEEvT1_
; %bb.0:
	.section	.rodata,"a",@progbits
	.p2align	6, 0x0
	.amdhsa_kernel _ZN7rocprim17ROCPRIM_400000_NS6detail17trampoline_kernelINS0_14default_configENS1_25partition_config_selectorILNS1_17partition_subalgoE9EiibEEZZNS1_14partition_implILS5_9ELb0ES3_jPKiN6thrust23THRUST_200600_302600_NS17counting_iteratorIiNSB_11use_defaultESD_SD_EEPNS0_10empty_typeENS0_5tupleIJPiSF_EEENSH_IJSI_SG_EEENS0_18inequality_wrapperIN6hipcub16HIPCUB_304000_NS8EqualityEEEPlJSF_EEE10hipError_tPvRmT3_T4_T5_T6_T7_T9_mT8_P12ihipStream_tbDpT10_ENKUlT_T0_E_clISt17integral_constantIbLb1EES1A_EEDaS15_S16_EUlS15_E_NS1_11comp_targetILNS1_3genE8ELNS1_11target_archE1030ELNS1_3gpuE2ELNS1_3repE0EEENS1_30default_config_static_selectorELNS0_4arch9wavefront6targetE1EEEvT1_
		.amdhsa_group_segment_fixed_size 0
		.amdhsa_private_segment_fixed_size 0
		.amdhsa_kernarg_size 128
		.amdhsa_user_sgpr_count 6
		.amdhsa_user_sgpr_private_segment_buffer 1
		.amdhsa_user_sgpr_dispatch_ptr 0
		.amdhsa_user_sgpr_queue_ptr 0
		.amdhsa_user_sgpr_kernarg_segment_ptr 1
		.amdhsa_user_sgpr_dispatch_id 0
		.amdhsa_user_sgpr_flat_scratch_init 0
		.amdhsa_user_sgpr_kernarg_preload_length 0
		.amdhsa_user_sgpr_kernarg_preload_offset 0
		.amdhsa_user_sgpr_private_segment_size 0
		.amdhsa_uses_dynamic_stack 0
		.amdhsa_system_sgpr_private_segment_wavefront_offset 0
		.amdhsa_system_sgpr_workgroup_id_x 1
		.amdhsa_system_sgpr_workgroup_id_y 0
		.amdhsa_system_sgpr_workgroup_id_z 0
		.amdhsa_system_sgpr_workgroup_info 0
		.amdhsa_system_vgpr_workitem_id 0
		.amdhsa_next_free_vgpr 1
		.amdhsa_next_free_sgpr 0
		.amdhsa_accum_offset 4
		.amdhsa_reserve_vcc 0
		.amdhsa_reserve_flat_scratch 0
		.amdhsa_float_round_mode_32 0
		.amdhsa_float_round_mode_16_64 0
		.amdhsa_float_denorm_mode_32 3
		.amdhsa_float_denorm_mode_16_64 3
		.amdhsa_dx10_clamp 1
		.amdhsa_ieee_mode 1
		.amdhsa_fp16_overflow 0
		.amdhsa_tg_split 0
		.amdhsa_exception_fp_ieee_invalid_op 0
		.amdhsa_exception_fp_denorm_src 0
		.amdhsa_exception_fp_ieee_div_zero 0
		.amdhsa_exception_fp_ieee_overflow 0
		.amdhsa_exception_fp_ieee_underflow 0
		.amdhsa_exception_fp_ieee_inexact 0
		.amdhsa_exception_int_div_zero 0
	.end_amdhsa_kernel
	.section	.text._ZN7rocprim17ROCPRIM_400000_NS6detail17trampoline_kernelINS0_14default_configENS1_25partition_config_selectorILNS1_17partition_subalgoE9EiibEEZZNS1_14partition_implILS5_9ELb0ES3_jPKiN6thrust23THRUST_200600_302600_NS17counting_iteratorIiNSB_11use_defaultESD_SD_EEPNS0_10empty_typeENS0_5tupleIJPiSF_EEENSH_IJSI_SG_EEENS0_18inequality_wrapperIN6hipcub16HIPCUB_304000_NS8EqualityEEEPlJSF_EEE10hipError_tPvRmT3_T4_T5_T6_T7_T9_mT8_P12ihipStream_tbDpT10_ENKUlT_T0_E_clISt17integral_constantIbLb1EES1A_EEDaS15_S16_EUlS15_E_NS1_11comp_targetILNS1_3genE8ELNS1_11target_archE1030ELNS1_3gpuE2ELNS1_3repE0EEENS1_30default_config_static_selectorELNS0_4arch9wavefront6targetE1EEEvT1_,"axG",@progbits,_ZN7rocprim17ROCPRIM_400000_NS6detail17trampoline_kernelINS0_14default_configENS1_25partition_config_selectorILNS1_17partition_subalgoE9EiibEEZZNS1_14partition_implILS5_9ELb0ES3_jPKiN6thrust23THRUST_200600_302600_NS17counting_iteratorIiNSB_11use_defaultESD_SD_EEPNS0_10empty_typeENS0_5tupleIJPiSF_EEENSH_IJSI_SG_EEENS0_18inequality_wrapperIN6hipcub16HIPCUB_304000_NS8EqualityEEEPlJSF_EEE10hipError_tPvRmT3_T4_T5_T6_T7_T9_mT8_P12ihipStream_tbDpT10_ENKUlT_T0_E_clISt17integral_constantIbLb1EES1A_EEDaS15_S16_EUlS15_E_NS1_11comp_targetILNS1_3genE8ELNS1_11target_archE1030ELNS1_3gpuE2ELNS1_3repE0EEENS1_30default_config_static_selectorELNS0_4arch9wavefront6targetE1EEEvT1_,comdat
.Lfunc_end25:
	.size	_ZN7rocprim17ROCPRIM_400000_NS6detail17trampoline_kernelINS0_14default_configENS1_25partition_config_selectorILNS1_17partition_subalgoE9EiibEEZZNS1_14partition_implILS5_9ELb0ES3_jPKiN6thrust23THRUST_200600_302600_NS17counting_iteratorIiNSB_11use_defaultESD_SD_EEPNS0_10empty_typeENS0_5tupleIJPiSF_EEENSH_IJSI_SG_EEENS0_18inequality_wrapperIN6hipcub16HIPCUB_304000_NS8EqualityEEEPlJSF_EEE10hipError_tPvRmT3_T4_T5_T6_T7_T9_mT8_P12ihipStream_tbDpT10_ENKUlT_T0_E_clISt17integral_constantIbLb1EES1A_EEDaS15_S16_EUlS15_E_NS1_11comp_targetILNS1_3genE8ELNS1_11target_archE1030ELNS1_3gpuE2ELNS1_3repE0EEENS1_30default_config_static_selectorELNS0_4arch9wavefront6targetE1EEEvT1_, .Lfunc_end25-_ZN7rocprim17ROCPRIM_400000_NS6detail17trampoline_kernelINS0_14default_configENS1_25partition_config_selectorILNS1_17partition_subalgoE9EiibEEZZNS1_14partition_implILS5_9ELb0ES3_jPKiN6thrust23THRUST_200600_302600_NS17counting_iteratorIiNSB_11use_defaultESD_SD_EEPNS0_10empty_typeENS0_5tupleIJPiSF_EEENSH_IJSI_SG_EEENS0_18inequality_wrapperIN6hipcub16HIPCUB_304000_NS8EqualityEEEPlJSF_EEE10hipError_tPvRmT3_T4_T5_T6_T7_T9_mT8_P12ihipStream_tbDpT10_ENKUlT_T0_E_clISt17integral_constantIbLb1EES1A_EEDaS15_S16_EUlS15_E_NS1_11comp_targetILNS1_3genE8ELNS1_11target_archE1030ELNS1_3gpuE2ELNS1_3repE0EEENS1_30default_config_static_selectorELNS0_4arch9wavefront6targetE1EEEvT1_
                                        ; -- End function
	.section	.AMDGPU.csdata,"",@progbits
; Kernel info:
; codeLenInByte = 0
; NumSgprs: 4
; NumVgprs: 0
; NumAgprs: 0
; TotalNumVgprs: 0
; ScratchSize: 0
; MemoryBound: 0
; FloatMode: 240
; IeeeMode: 1
; LDSByteSize: 0 bytes/workgroup (compile time only)
; SGPRBlocks: 0
; VGPRBlocks: 0
; NumSGPRsForWavesPerEU: 4
; NumVGPRsForWavesPerEU: 1
; AccumOffset: 4
; Occupancy: 8
; WaveLimiterHint : 0
; COMPUTE_PGM_RSRC2:SCRATCH_EN: 0
; COMPUTE_PGM_RSRC2:USER_SGPR: 6
; COMPUTE_PGM_RSRC2:TRAP_HANDLER: 0
; COMPUTE_PGM_RSRC2:TGID_X_EN: 1
; COMPUTE_PGM_RSRC2:TGID_Y_EN: 0
; COMPUTE_PGM_RSRC2:TGID_Z_EN: 0
; COMPUTE_PGM_RSRC2:TIDIG_COMP_CNT: 0
; COMPUTE_PGM_RSRC3_GFX90A:ACCUM_OFFSET: 0
; COMPUTE_PGM_RSRC3_GFX90A:TG_SPLIT: 0
	.section	.text._ZN7rocprim17ROCPRIM_400000_NS6detail31init_lookback_scan_state_kernelINS1_19lookback_scan_stateIjLb1ELb1EEENS1_16block_id_wrapperIjLb0EEEEEvT_jT0_jPNS7_10value_typeE,"axG",@progbits,_ZN7rocprim17ROCPRIM_400000_NS6detail31init_lookback_scan_state_kernelINS1_19lookback_scan_stateIjLb1ELb1EEENS1_16block_id_wrapperIjLb0EEEEEvT_jT0_jPNS7_10value_typeE,comdat
	.protected	_ZN7rocprim17ROCPRIM_400000_NS6detail31init_lookback_scan_state_kernelINS1_19lookback_scan_stateIjLb1ELb1EEENS1_16block_id_wrapperIjLb0EEEEEvT_jT0_jPNS7_10value_typeE ; -- Begin function _ZN7rocprim17ROCPRIM_400000_NS6detail31init_lookback_scan_state_kernelINS1_19lookback_scan_stateIjLb1ELb1EEENS1_16block_id_wrapperIjLb0EEEEEvT_jT0_jPNS7_10value_typeE
	.globl	_ZN7rocprim17ROCPRIM_400000_NS6detail31init_lookback_scan_state_kernelINS1_19lookback_scan_stateIjLb1ELb1EEENS1_16block_id_wrapperIjLb0EEEEEvT_jT0_jPNS7_10value_typeE
	.p2align	8
	.type	_ZN7rocprim17ROCPRIM_400000_NS6detail31init_lookback_scan_state_kernelINS1_19lookback_scan_stateIjLb1ELb1EEENS1_16block_id_wrapperIjLb0EEEEEvT_jT0_jPNS7_10value_typeE,@function
_ZN7rocprim17ROCPRIM_400000_NS6detail31init_lookback_scan_state_kernelINS1_19lookback_scan_stateIjLb1ELb1EEENS1_16block_id_wrapperIjLb0EEEEEvT_jT0_jPNS7_10value_typeE: ; @_ZN7rocprim17ROCPRIM_400000_NS6detail31init_lookback_scan_state_kernelINS1_19lookback_scan_stateIjLb1ELb1EEENS1_16block_id_wrapperIjLb0EEEEEvT_jT0_jPNS7_10value_typeE
; %bb.0:
	s_load_dword s7, s[4:5], 0x2c
	s_load_dwordx2 s[2:3], s[4:5], 0x18
	s_load_dwordx2 s[0:1], s[4:5], 0x0
	s_load_dword s8, s[4:5], 0x8
	s_waitcnt lgkmcnt(0)
	s_and_b32 s7, s7, 0xffff
	s_mul_i32 s6, s6, s7
	s_cmp_eq_u64 s[2:3], 0
	v_add_u32_e32 v0, s6, v0
	s_cbranch_scc1 .LBB26_9
; %bb.1:
	s_load_dword s6, s[4:5], 0x10
	s_mov_b32 s7, 0
	s_waitcnt lgkmcnt(0)
	s_cmp_lt_u32 s6, s8
	s_cselect_b32 s4, s6, 0
	v_cmp_eq_u32_e32 vcc, s4, v0
	s_and_saveexec_b64 s[4:5], vcc
	s_cbranch_execz .LBB26_8
; %bb.2:
	s_add_i32 s6, s6, 64
	s_lshl_b64 s[6:7], s[6:7], 3
	s_add_u32 s6, s0, s6
	s_addc_u32 s7, s1, s7
	v_mov_b32_e32 v2, 0
	global_load_dwordx2 v[4:5], v2, s[6:7] glc
	s_waitcnt vmcnt(0)
	v_and_b32_e32 v3, 0xff, v5
	v_cmp_ne_u64_e32 vcc, 0, v[2:3]
	s_cbranch_vccnz .LBB26_7
; %bb.3:
	s_mov_b32 s9, 1
.LBB26_4:                               ; =>This Loop Header: Depth=1
                                        ;     Child Loop BB26_5 Depth 2
	s_max_u32 s10, s9, 1
.LBB26_5:                               ;   Parent Loop BB26_4 Depth=1
                                        ; =>  This Inner Loop Header: Depth=2
	s_add_i32 s10, s10, -1
	s_cmp_eq_u32 s10, 0
	s_sleep 1
	s_cbranch_scc0 .LBB26_5
; %bb.6:                                ;   in Loop: Header=BB26_4 Depth=1
	global_load_dwordx2 v[4:5], v2, s[6:7] glc
	s_cmp_lt_u32 s9, 32
	s_cselect_b64 s[10:11], -1, 0
	s_cmp_lg_u64 s[10:11], 0
	s_addc_u32 s9, s9, 0
	s_waitcnt vmcnt(0)
	v_and_b32_e32 v3, 0xff, v5
	v_cmp_ne_u64_e32 vcc, 0, v[2:3]
	s_cbranch_vccz .LBB26_4
.LBB26_7:
	v_mov_b32_e32 v1, 0
	global_store_dword v1, v4, s[2:3]
.LBB26_8:
	s_or_b64 exec, exec, s[4:5]
.LBB26_9:
	v_cmp_gt_u32_e32 vcc, s8, v0
	s_and_saveexec_b64 s[2:3], vcc
	s_cbranch_execnz .LBB26_12
; %bb.10:
	s_or_b64 exec, exec, s[2:3]
	v_cmp_gt_u32_e32 vcc, 64, v0
	s_and_saveexec_b64 s[2:3], vcc
	s_cbranch_execnz .LBB26_13
.LBB26_11:
	s_endpgm
.LBB26_12:
	v_add_u32_e32 v2, 64, v0
	v_mov_b32_e32 v3, 0
	v_lshlrev_b64 v[4:5], 3, v[2:3]
	v_mov_b32_e32 v1, s1
	v_add_co_u32_e32 v4, vcc, s0, v4
	v_addc_co_u32_e32 v5, vcc, v1, v5, vcc
	v_mov_b32_e32 v2, v3
	global_store_dwordx2 v[4:5], v[2:3], off
	s_or_b64 exec, exec, s[2:3]
	v_cmp_gt_u32_e32 vcc, 64, v0
	s_and_saveexec_b64 s[2:3], vcc
	s_cbranch_execz .LBB26_11
.LBB26_13:
	v_mov_b32_e32 v1, 0
	v_lshlrev_b64 v[2:3], 3, v[0:1]
	v_mov_b32_e32 v0, s1
	v_add_co_u32_e32 v2, vcc, s0, v2
	v_addc_co_u32_e32 v3, vcc, v0, v3, vcc
	v_mov_b32_e32 v5, 0xff
	v_mov_b32_e32 v4, v1
	global_store_dwordx2 v[2:3], v[4:5], off
	s_endpgm
	.section	.rodata,"a",@progbits
	.p2align	6, 0x0
	.amdhsa_kernel _ZN7rocprim17ROCPRIM_400000_NS6detail31init_lookback_scan_state_kernelINS1_19lookback_scan_stateIjLb1ELb1EEENS1_16block_id_wrapperIjLb0EEEEEvT_jT0_jPNS7_10value_typeE
		.amdhsa_group_segment_fixed_size 0
		.amdhsa_private_segment_fixed_size 0
		.amdhsa_kernarg_size 288
		.amdhsa_user_sgpr_count 6
		.amdhsa_user_sgpr_private_segment_buffer 1
		.amdhsa_user_sgpr_dispatch_ptr 0
		.amdhsa_user_sgpr_queue_ptr 0
		.amdhsa_user_sgpr_kernarg_segment_ptr 1
		.amdhsa_user_sgpr_dispatch_id 0
		.amdhsa_user_sgpr_flat_scratch_init 0
		.amdhsa_user_sgpr_kernarg_preload_length 0
		.amdhsa_user_sgpr_kernarg_preload_offset 0
		.amdhsa_user_sgpr_private_segment_size 0
		.amdhsa_uses_dynamic_stack 0
		.amdhsa_system_sgpr_private_segment_wavefront_offset 0
		.amdhsa_system_sgpr_workgroup_id_x 1
		.amdhsa_system_sgpr_workgroup_id_y 0
		.amdhsa_system_sgpr_workgroup_id_z 0
		.amdhsa_system_sgpr_workgroup_info 0
		.amdhsa_system_vgpr_workitem_id 0
		.amdhsa_next_free_vgpr 6
		.amdhsa_next_free_sgpr 12
		.amdhsa_accum_offset 8
		.amdhsa_reserve_vcc 1
		.amdhsa_reserve_flat_scratch 0
		.amdhsa_float_round_mode_32 0
		.amdhsa_float_round_mode_16_64 0
		.amdhsa_float_denorm_mode_32 3
		.amdhsa_float_denorm_mode_16_64 3
		.amdhsa_dx10_clamp 1
		.amdhsa_ieee_mode 1
		.amdhsa_fp16_overflow 0
		.amdhsa_tg_split 0
		.amdhsa_exception_fp_ieee_invalid_op 0
		.amdhsa_exception_fp_denorm_src 0
		.amdhsa_exception_fp_ieee_div_zero 0
		.amdhsa_exception_fp_ieee_overflow 0
		.amdhsa_exception_fp_ieee_underflow 0
		.amdhsa_exception_fp_ieee_inexact 0
		.amdhsa_exception_int_div_zero 0
	.end_amdhsa_kernel
	.section	.text._ZN7rocprim17ROCPRIM_400000_NS6detail31init_lookback_scan_state_kernelINS1_19lookback_scan_stateIjLb1ELb1EEENS1_16block_id_wrapperIjLb0EEEEEvT_jT0_jPNS7_10value_typeE,"axG",@progbits,_ZN7rocprim17ROCPRIM_400000_NS6detail31init_lookback_scan_state_kernelINS1_19lookback_scan_stateIjLb1ELb1EEENS1_16block_id_wrapperIjLb0EEEEEvT_jT0_jPNS7_10value_typeE,comdat
.Lfunc_end26:
	.size	_ZN7rocprim17ROCPRIM_400000_NS6detail31init_lookback_scan_state_kernelINS1_19lookback_scan_stateIjLb1ELb1EEENS1_16block_id_wrapperIjLb0EEEEEvT_jT0_jPNS7_10value_typeE, .Lfunc_end26-_ZN7rocprim17ROCPRIM_400000_NS6detail31init_lookback_scan_state_kernelINS1_19lookback_scan_stateIjLb1ELb1EEENS1_16block_id_wrapperIjLb0EEEEEvT_jT0_jPNS7_10value_typeE
                                        ; -- End function
	.section	.AMDGPU.csdata,"",@progbits
; Kernel info:
; codeLenInByte = 364
; NumSgprs: 16
; NumVgprs: 6
; NumAgprs: 0
; TotalNumVgprs: 6
; ScratchSize: 0
; MemoryBound: 0
; FloatMode: 240
; IeeeMode: 1
; LDSByteSize: 0 bytes/workgroup (compile time only)
; SGPRBlocks: 1
; VGPRBlocks: 0
; NumSGPRsForWavesPerEU: 16
; NumVGPRsForWavesPerEU: 6
; AccumOffset: 8
; Occupancy: 8
; WaveLimiterHint : 0
; COMPUTE_PGM_RSRC2:SCRATCH_EN: 0
; COMPUTE_PGM_RSRC2:USER_SGPR: 6
; COMPUTE_PGM_RSRC2:TRAP_HANDLER: 0
; COMPUTE_PGM_RSRC2:TGID_X_EN: 1
; COMPUTE_PGM_RSRC2:TGID_Y_EN: 0
; COMPUTE_PGM_RSRC2:TGID_Z_EN: 0
; COMPUTE_PGM_RSRC2:TIDIG_COMP_CNT: 0
; COMPUTE_PGM_RSRC3_GFX90A:ACCUM_OFFSET: 1
; COMPUTE_PGM_RSRC3_GFX90A:TG_SPLIT: 0
	.section	.text._ZN7rocprim17ROCPRIM_400000_NS6detail17trampoline_kernelINS0_14default_configENS1_25partition_config_selectorILNS1_17partition_subalgoE9EiibEEZZNS1_14partition_implILS5_9ELb0ES3_jPKiN6thrust23THRUST_200600_302600_NS17counting_iteratorIiNSB_11use_defaultESD_SD_EEPNS0_10empty_typeENS0_5tupleIJPiSF_EEENSH_IJSI_SG_EEENS0_18inequality_wrapperIN6hipcub16HIPCUB_304000_NS8EqualityEEEPlJSF_EEE10hipError_tPvRmT3_T4_T5_T6_T7_T9_mT8_P12ihipStream_tbDpT10_ENKUlT_T0_E_clISt17integral_constantIbLb1EES19_IbLb0EEEEDaS15_S16_EUlS15_E_NS1_11comp_targetILNS1_3genE0ELNS1_11target_archE4294967295ELNS1_3gpuE0ELNS1_3repE0EEENS1_30default_config_static_selectorELNS0_4arch9wavefront6targetE1EEEvT1_,"axG",@progbits,_ZN7rocprim17ROCPRIM_400000_NS6detail17trampoline_kernelINS0_14default_configENS1_25partition_config_selectorILNS1_17partition_subalgoE9EiibEEZZNS1_14partition_implILS5_9ELb0ES3_jPKiN6thrust23THRUST_200600_302600_NS17counting_iteratorIiNSB_11use_defaultESD_SD_EEPNS0_10empty_typeENS0_5tupleIJPiSF_EEENSH_IJSI_SG_EEENS0_18inequality_wrapperIN6hipcub16HIPCUB_304000_NS8EqualityEEEPlJSF_EEE10hipError_tPvRmT3_T4_T5_T6_T7_T9_mT8_P12ihipStream_tbDpT10_ENKUlT_T0_E_clISt17integral_constantIbLb1EES19_IbLb0EEEEDaS15_S16_EUlS15_E_NS1_11comp_targetILNS1_3genE0ELNS1_11target_archE4294967295ELNS1_3gpuE0ELNS1_3repE0EEENS1_30default_config_static_selectorELNS0_4arch9wavefront6targetE1EEEvT1_,comdat
	.protected	_ZN7rocprim17ROCPRIM_400000_NS6detail17trampoline_kernelINS0_14default_configENS1_25partition_config_selectorILNS1_17partition_subalgoE9EiibEEZZNS1_14partition_implILS5_9ELb0ES3_jPKiN6thrust23THRUST_200600_302600_NS17counting_iteratorIiNSB_11use_defaultESD_SD_EEPNS0_10empty_typeENS0_5tupleIJPiSF_EEENSH_IJSI_SG_EEENS0_18inequality_wrapperIN6hipcub16HIPCUB_304000_NS8EqualityEEEPlJSF_EEE10hipError_tPvRmT3_T4_T5_T6_T7_T9_mT8_P12ihipStream_tbDpT10_ENKUlT_T0_E_clISt17integral_constantIbLb1EES19_IbLb0EEEEDaS15_S16_EUlS15_E_NS1_11comp_targetILNS1_3genE0ELNS1_11target_archE4294967295ELNS1_3gpuE0ELNS1_3repE0EEENS1_30default_config_static_selectorELNS0_4arch9wavefront6targetE1EEEvT1_ ; -- Begin function _ZN7rocprim17ROCPRIM_400000_NS6detail17trampoline_kernelINS0_14default_configENS1_25partition_config_selectorILNS1_17partition_subalgoE9EiibEEZZNS1_14partition_implILS5_9ELb0ES3_jPKiN6thrust23THRUST_200600_302600_NS17counting_iteratorIiNSB_11use_defaultESD_SD_EEPNS0_10empty_typeENS0_5tupleIJPiSF_EEENSH_IJSI_SG_EEENS0_18inequality_wrapperIN6hipcub16HIPCUB_304000_NS8EqualityEEEPlJSF_EEE10hipError_tPvRmT3_T4_T5_T6_T7_T9_mT8_P12ihipStream_tbDpT10_ENKUlT_T0_E_clISt17integral_constantIbLb1EES19_IbLb0EEEEDaS15_S16_EUlS15_E_NS1_11comp_targetILNS1_3genE0ELNS1_11target_archE4294967295ELNS1_3gpuE0ELNS1_3repE0EEENS1_30default_config_static_selectorELNS0_4arch9wavefront6targetE1EEEvT1_
	.globl	_ZN7rocprim17ROCPRIM_400000_NS6detail17trampoline_kernelINS0_14default_configENS1_25partition_config_selectorILNS1_17partition_subalgoE9EiibEEZZNS1_14partition_implILS5_9ELb0ES3_jPKiN6thrust23THRUST_200600_302600_NS17counting_iteratorIiNSB_11use_defaultESD_SD_EEPNS0_10empty_typeENS0_5tupleIJPiSF_EEENSH_IJSI_SG_EEENS0_18inequality_wrapperIN6hipcub16HIPCUB_304000_NS8EqualityEEEPlJSF_EEE10hipError_tPvRmT3_T4_T5_T6_T7_T9_mT8_P12ihipStream_tbDpT10_ENKUlT_T0_E_clISt17integral_constantIbLb1EES19_IbLb0EEEEDaS15_S16_EUlS15_E_NS1_11comp_targetILNS1_3genE0ELNS1_11target_archE4294967295ELNS1_3gpuE0ELNS1_3repE0EEENS1_30default_config_static_selectorELNS0_4arch9wavefront6targetE1EEEvT1_
	.p2align	8
	.type	_ZN7rocprim17ROCPRIM_400000_NS6detail17trampoline_kernelINS0_14default_configENS1_25partition_config_selectorILNS1_17partition_subalgoE9EiibEEZZNS1_14partition_implILS5_9ELb0ES3_jPKiN6thrust23THRUST_200600_302600_NS17counting_iteratorIiNSB_11use_defaultESD_SD_EEPNS0_10empty_typeENS0_5tupleIJPiSF_EEENSH_IJSI_SG_EEENS0_18inequality_wrapperIN6hipcub16HIPCUB_304000_NS8EqualityEEEPlJSF_EEE10hipError_tPvRmT3_T4_T5_T6_T7_T9_mT8_P12ihipStream_tbDpT10_ENKUlT_T0_E_clISt17integral_constantIbLb1EES19_IbLb0EEEEDaS15_S16_EUlS15_E_NS1_11comp_targetILNS1_3genE0ELNS1_11target_archE4294967295ELNS1_3gpuE0ELNS1_3repE0EEENS1_30default_config_static_selectorELNS0_4arch9wavefront6targetE1EEEvT1_,@function
_ZN7rocprim17ROCPRIM_400000_NS6detail17trampoline_kernelINS0_14default_configENS1_25partition_config_selectorILNS1_17partition_subalgoE9EiibEEZZNS1_14partition_implILS5_9ELb0ES3_jPKiN6thrust23THRUST_200600_302600_NS17counting_iteratorIiNSB_11use_defaultESD_SD_EEPNS0_10empty_typeENS0_5tupleIJPiSF_EEENSH_IJSI_SG_EEENS0_18inequality_wrapperIN6hipcub16HIPCUB_304000_NS8EqualityEEEPlJSF_EEE10hipError_tPvRmT3_T4_T5_T6_T7_T9_mT8_P12ihipStream_tbDpT10_ENKUlT_T0_E_clISt17integral_constantIbLb1EES19_IbLb0EEEEDaS15_S16_EUlS15_E_NS1_11comp_targetILNS1_3genE0ELNS1_11target_archE4294967295ELNS1_3gpuE0ELNS1_3repE0EEENS1_30default_config_static_selectorELNS0_4arch9wavefront6targetE1EEEvT1_: ; @_ZN7rocprim17ROCPRIM_400000_NS6detail17trampoline_kernelINS0_14default_configENS1_25partition_config_selectorILNS1_17partition_subalgoE9EiibEEZZNS1_14partition_implILS5_9ELb0ES3_jPKiN6thrust23THRUST_200600_302600_NS17counting_iteratorIiNSB_11use_defaultESD_SD_EEPNS0_10empty_typeENS0_5tupleIJPiSF_EEENSH_IJSI_SG_EEENS0_18inequality_wrapperIN6hipcub16HIPCUB_304000_NS8EqualityEEEPlJSF_EEE10hipError_tPvRmT3_T4_T5_T6_T7_T9_mT8_P12ihipStream_tbDpT10_ENKUlT_T0_E_clISt17integral_constantIbLb1EES19_IbLb0EEEEDaS15_S16_EUlS15_E_NS1_11comp_targetILNS1_3genE0ELNS1_11target_archE4294967295ELNS1_3gpuE0ELNS1_3repE0EEENS1_30default_config_static_selectorELNS0_4arch9wavefront6targetE1EEEvT1_
; %bb.0:
	.section	.rodata,"a",@progbits
	.p2align	6, 0x0
	.amdhsa_kernel _ZN7rocprim17ROCPRIM_400000_NS6detail17trampoline_kernelINS0_14default_configENS1_25partition_config_selectorILNS1_17partition_subalgoE9EiibEEZZNS1_14partition_implILS5_9ELb0ES3_jPKiN6thrust23THRUST_200600_302600_NS17counting_iteratorIiNSB_11use_defaultESD_SD_EEPNS0_10empty_typeENS0_5tupleIJPiSF_EEENSH_IJSI_SG_EEENS0_18inequality_wrapperIN6hipcub16HIPCUB_304000_NS8EqualityEEEPlJSF_EEE10hipError_tPvRmT3_T4_T5_T6_T7_T9_mT8_P12ihipStream_tbDpT10_ENKUlT_T0_E_clISt17integral_constantIbLb1EES19_IbLb0EEEEDaS15_S16_EUlS15_E_NS1_11comp_targetILNS1_3genE0ELNS1_11target_archE4294967295ELNS1_3gpuE0ELNS1_3repE0EEENS1_30default_config_static_selectorELNS0_4arch9wavefront6targetE1EEEvT1_
		.amdhsa_group_segment_fixed_size 0
		.amdhsa_private_segment_fixed_size 0
		.amdhsa_kernarg_size 112
		.amdhsa_user_sgpr_count 6
		.amdhsa_user_sgpr_private_segment_buffer 1
		.amdhsa_user_sgpr_dispatch_ptr 0
		.amdhsa_user_sgpr_queue_ptr 0
		.amdhsa_user_sgpr_kernarg_segment_ptr 1
		.amdhsa_user_sgpr_dispatch_id 0
		.amdhsa_user_sgpr_flat_scratch_init 0
		.amdhsa_user_sgpr_kernarg_preload_length 0
		.amdhsa_user_sgpr_kernarg_preload_offset 0
		.amdhsa_user_sgpr_private_segment_size 0
		.amdhsa_uses_dynamic_stack 0
		.amdhsa_system_sgpr_private_segment_wavefront_offset 0
		.amdhsa_system_sgpr_workgroup_id_x 1
		.amdhsa_system_sgpr_workgroup_id_y 0
		.amdhsa_system_sgpr_workgroup_id_z 0
		.amdhsa_system_sgpr_workgroup_info 0
		.amdhsa_system_vgpr_workitem_id 0
		.amdhsa_next_free_vgpr 1
		.amdhsa_next_free_sgpr 0
		.amdhsa_accum_offset 4
		.amdhsa_reserve_vcc 0
		.amdhsa_reserve_flat_scratch 0
		.amdhsa_float_round_mode_32 0
		.amdhsa_float_round_mode_16_64 0
		.amdhsa_float_denorm_mode_32 3
		.amdhsa_float_denorm_mode_16_64 3
		.amdhsa_dx10_clamp 1
		.amdhsa_ieee_mode 1
		.amdhsa_fp16_overflow 0
		.amdhsa_tg_split 0
		.amdhsa_exception_fp_ieee_invalid_op 0
		.amdhsa_exception_fp_denorm_src 0
		.amdhsa_exception_fp_ieee_div_zero 0
		.amdhsa_exception_fp_ieee_overflow 0
		.amdhsa_exception_fp_ieee_underflow 0
		.amdhsa_exception_fp_ieee_inexact 0
		.amdhsa_exception_int_div_zero 0
	.end_amdhsa_kernel
	.section	.text._ZN7rocprim17ROCPRIM_400000_NS6detail17trampoline_kernelINS0_14default_configENS1_25partition_config_selectorILNS1_17partition_subalgoE9EiibEEZZNS1_14partition_implILS5_9ELb0ES3_jPKiN6thrust23THRUST_200600_302600_NS17counting_iteratorIiNSB_11use_defaultESD_SD_EEPNS0_10empty_typeENS0_5tupleIJPiSF_EEENSH_IJSI_SG_EEENS0_18inequality_wrapperIN6hipcub16HIPCUB_304000_NS8EqualityEEEPlJSF_EEE10hipError_tPvRmT3_T4_T5_T6_T7_T9_mT8_P12ihipStream_tbDpT10_ENKUlT_T0_E_clISt17integral_constantIbLb1EES19_IbLb0EEEEDaS15_S16_EUlS15_E_NS1_11comp_targetILNS1_3genE0ELNS1_11target_archE4294967295ELNS1_3gpuE0ELNS1_3repE0EEENS1_30default_config_static_selectorELNS0_4arch9wavefront6targetE1EEEvT1_,"axG",@progbits,_ZN7rocprim17ROCPRIM_400000_NS6detail17trampoline_kernelINS0_14default_configENS1_25partition_config_selectorILNS1_17partition_subalgoE9EiibEEZZNS1_14partition_implILS5_9ELb0ES3_jPKiN6thrust23THRUST_200600_302600_NS17counting_iteratorIiNSB_11use_defaultESD_SD_EEPNS0_10empty_typeENS0_5tupleIJPiSF_EEENSH_IJSI_SG_EEENS0_18inequality_wrapperIN6hipcub16HIPCUB_304000_NS8EqualityEEEPlJSF_EEE10hipError_tPvRmT3_T4_T5_T6_T7_T9_mT8_P12ihipStream_tbDpT10_ENKUlT_T0_E_clISt17integral_constantIbLb1EES19_IbLb0EEEEDaS15_S16_EUlS15_E_NS1_11comp_targetILNS1_3genE0ELNS1_11target_archE4294967295ELNS1_3gpuE0ELNS1_3repE0EEENS1_30default_config_static_selectorELNS0_4arch9wavefront6targetE1EEEvT1_,comdat
.Lfunc_end27:
	.size	_ZN7rocprim17ROCPRIM_400000_NS6detail17trampoline_kernelINS0_14default_configENS1_25partition_config_selectorILNS1_17partition_subalgoE9EiibEEZZNS1_14partition_implILS5_9ELb0ES3_jPKiN6thrust23THRUST_200600_302600_NS17counting_iteratorIiNSB_11use_defaultESD_SD_EEPNS0_10empty_typeENS0_5tupleIJPiSF_EEENSH_IJSI_SG_EEENS0_18inequality_wrapperIN6hipcub16HIPCUB_304000_NS8EqualityEEEPlJSF_EEE10hipError_tPvRmT3_T4_T5_T6_T7_T9_mT8_P12ihipStream_tbDpT10_ENKUlT_T0_E_clISt17integral_constantIbLb1EES19_IbLb0EEEEDaS15_S16_EUlS15_E_NS1_11comp_targetILNS1_3genE0ELNS1_11target_archE4294967295ELNS1_3gpuE0ELNS1_3repE0EEENS1_30default_config_static_selectorELNS0_4arch9wavefront6targetE1EEEvT1_, .Lfunc_end27-_ZN7rocprim17ROCPRIM_400000_NS6detail17trampoline_kernelINS0_14default_configENS1_25partition_config_selectorILNS1_17partition_subalgoE9EiibEEZZNS1_14partition_implILS5_9ELb0ES3_jPKiN6thrust23THRUST_200600_302600_NS17counting_iteratorIiNSB_11use_defaultESD_SD_EEPNS0_10empty_typeENS0_5tupleIJPiSF_EEENSH_IJSI_SG_EEENS0_18inequality_wrapperIN6hipcub16HIPCUB_304000_NS8EqualityEEEPlJSF_EEE10hipError_tPvRmT3_T4_T5_T6_T7_T9_mT8_P12ihipStream_tbDpT10_ENKUlT_T0_E_clISt17integral_constantIbLb1EES19_IbLb0EEEEDaS15_S16_EUlS15_E_NS1_11comp_targetILNS1_3genE0ELNS1_11target_archE4294967295ELNS1_3gpuE0ELNS1_3repE0EEENS1_30default_config_static_selectorELNS0_4arch9wavefront6targetE1EEEvT1_
                                        ; -- End function
	.section	.AMDGPU.csdata,"",@progbits
; Kernel info:
; codeLenInByte = 0
; NumSgprs: 4
; NumVgprs: 0
; NumAgprs: 0
; TotalNumVgprs: 0
; ScratchSize: 0
; MemoryBound: 0
; FloatMode: 240
; IeeeMode: 1
; LDSByteSize: 0 bytes/workgroup (compile time only)
; SGPRBlocks: 0
; VGPRBlocks: 0
; NumSGPRsForWavesPerEU: 4
; NumVGPRsForWavesPerEU: 1
; AccumOffset: 4
; Occupancy: 8
; WaveLimiterHint : 0
; COMPUTE_PGM_RSRC2:SCRATCH_EN: 0
; COMPUTE_PGM_RSRC2:USER_SGPR: 6
; COMPUTE_PGM_RSRC2:TRAP_HANDLER: 0
; COMPUTE_PGM_RSRC2:TGID_X_EN: 1
; COMPUTE_PGM_RSRC2:TGID_Y_EN: 0
; COMPUTE_PGM_RSRC2:TGID_Z_EN: 0
; COMPUTE_PGM_RSRC2:TIDIG_COMP_CNT: 0
; COMPUTE_PGM_RSRC3_GFX90A:ACCUM_OFFSET: 0
; COMPUTE_PGM_RSRC3_GFX90A:TG_SPLIT: 0
	.section	.text._ZN7rocprim17ROCPRIM_400000_NS6detail17trampoline_kernelINS0_14default_configENS1_25partition_config_selectorILNS1_17partition_subalgoE9EiibEEZZNS1_14partition_implILS5_9ELb0ES3_jPKiN6thrust23THRUST_200600_302600_NS17counting_iteratorIiNSB_11use_defaultESD_SD_EEPNS0_10empty_typeENS0_5tupleIJPiSF_EEENSH_IJSI_SG_EEENS0_18inequality_wrapperIN6hipcub16HIPCUB_304000_NS8EqualityEEEPlJSF_EEE10hipError_tPvRmT3_T4_T5_T6_T7_T9_mT8_P12ihipStream_tbDpT10_ENKUlT_T0_E_clISt17integral_constantIbLb1EES19_IbLb0EEEEDaS15_S16_EUlS15_E_NS1_11comp_targetILNS1_3genE5ELNS1_11target_archE942ELNS1_3gpuE9ELNS1_3repE0EEENS1_30default_config_static_selectorELNS0_4arch9wavefront6targetE1EEEvT1_,"axG",@progbits,_ZN7rocprim17ROCPRIM_400000_NS6detail17trampoline_kernelINS0_14default_configENS1_25partition_config_selectorILNS1_17partition_subalgoE9EiibEEZZNS1_14partition_implILS5_9ELb0ES3_jPKiN6thrust23THRUST_200600_302600_NS17counting_iteratorIiNSB_11use_defaultESD_SD_EEPNS0_10empty_typeENS0_5tupleIJPiSF_EEENSH_IJSI_SG_EEENS0_18inequality_wrapperIN6hipcub16HIPCUB_304000_NS8EqualityEEEPlJSF_EEE10hipError_tPvRmT3_T4_T5_T6_T7_T9_mT8_P12ihipStream_tbDpT10_ENKUlT_T0_E_clISt17integral_constantIbLb1EES19_IbLb0EEEEDaS15_S16_EUlS15_E_NS1_11comp_targetILNS1_3genE5ELNS1_11target_archE942ELNS1_3gpuE9ELNS1_3repE0EEENS1_30default_config_static_selectorELNS0_4arch9wavefront6targetE1EEEvT1_,comdat
	.protected	_ZN7rocprim17ROCPRIM_400000_NS6detail17trampoline_kernelINS0_14default_configENS1_25partition_config_selectorILNS1_17partition_subalgoE9EiibEEZZNS1_14partition_implILS5_9ELb0ES3_jPKiN6thrust23THRUST_200600_302600_NS17counting_iteratorIiNSB_11use_defaultESD_SD_EEPNS0_10empty_typeENS0_5tupleIJPiSF_EEENSH_IJSI_SG_EEENS0_18inequality_wrapperIN6hipcub16HIPCUB_304000_NS8EqualityEEEPlJSF_EEE10hipError_tPvRmT3_T4_T5_T6_T7_T9_mT8_P12ihipStream_tbDpT10_ENKUlT_T0_E_clISt17integral_constantIbLb1EES19_IbLb0EEEEDaS15_S16_EUlS15_E_NS1_11comp_targetILNS1_3genE5ELNS1_11target_archE942ELNS1_3gpuE9ELNS1_3repE0EEENS1_30default_config_static_selectorELNS0_4arch9wavefront6targetE1EEEvT1_ ; -- Begin function _ZN7rocprim17ROCPRIM_400000_NS6detail17trampoline_kernelINS0_14default_configENS1_25partition_config_selectorILNS1_17partition_subalgoE9EiibEEZZNS1_14partition_implILS5_9ELb0ES3_jPKiN6thrust23THRUST_200600_302600_NS17counting_iteratorIiNSB_11use_defaultESD_SD_EEPNS0_10empty_typeENS0_5tupleIJPiSF_EEENSH_IJSI_SG_EEENS0_18inequality_wrapperIN6hipcub16HIPCUB_304000_NS8EqualityEEEPlJSF_EEE10hipError_tPvRmT3_T4_T5_T6_T7_T9_mT8_P12ihipStream_tbDpT10_ENKUlT_T0_E_clISt17integral_constantIbLb1EES19_IbLb0EEEEDaS15_S16_EUlS15_E_NS1_11comp_targetILNS1_3genE5ELNS1_11target_archE942ELNS1_3gpuE9ELNS1_3repE0EEENS1_30default_config_static_selectorELNS0_4arch9wavefront6targetE1EEEvT1_
	.globl	_ZN7rocprim17ROCPRIM_400000_NS6detail17trampoline_kernelINS0_14default_configENS1_25partition_config_selectorILNS1_17partition_subalgoE9EiibEEZZNS1_14partition_implILS5_9ELb0ES3_jPKiN6thrust23THRUST_200600_302600_NS17counting_iteratorIiNSB_11use_defaultESD_SD_EEPNS0_10empty_typeENS0_5tupleIJPiSF_EEENSH_IJSI_SG_EEENS0_18inequality_wrapperIN6hipcub16HIPCUB_304000_NS8EqualityEEEPlJSF_EEE10hipError_tPvRmT3_T4_T5_T6_T7_T9_mT8_P12ihipStream_tbDpT10_ENKUlT_T0_E_clISt17integral_constantIbLb1EES19_IbLb0EEEEDaS15_S16_EUlS15_E_NS1_11comp_targetILNS1_3genE5ELNS1_11target_archE942ELNS1_3gpuE9ELNS1_3repE0EEENS1_30default_config_static_selectorELNS0_4arch9wavefront6targetE1EEEvT1_
	.p2align	8
	.type	_ZN7rocprim17ROCPRIM_400000_NS6detail17trampoline_kernelINS0_14default_configENS1_25partition_config_selectorILNS1_17partition_subalgoE9EiibEEZZNS1_14partition_implILS5_9ELb0ES3_jPKiN6thrust23THRUST_200600_302600_NS17counting_iteratorIiNSB_11use_defaultESD_SD_EEPNS0_10empty_typeENS0_5tupleIJPiSF_EEENSH_IJSI_SG_EEENS0_18inequality_wrapperIN6hipcub16HIPCUB_304000_NS8EqualityEEEPlJSF_EEE10hipError_tPvRmT3_T4_T5_T6_T7_T9_mT8_P12ihipStream_tbDpT10_ENKUlT_T0_E_clISt17integral_constantIbLb1EES19_IbLb0EEEEDaS15_S16_EUlS15_E_NS1_11comp_targetILNS1_3genE5ELNS1_11target_archE942ELNS1_3gpuE9ELNS1_3repE0EEENS1_30default_config_static_selectorELNS0_4arch9wavefront6targetE1EEEvT1_,@function
_ZN7rocprim17ROCPRIM_400000_NS6detail17trampoline_kernelINS0_14default_configENS1_25partition_config_selectorILNS1_17partition_subalgoE9EiibEEZZNS1_14partition_implILS5_9ELb0ES3_jPKiN6thrust23THRUST_200600_302600_NS17counting_iteratorIiNSB_11use_defaultESD_SD_EEPNS0_10empty_typeENS0_5tupleIJPiSF_EEENSH_IJSI_SG_EEENS0_18inequality_wrapperIN6hipcub16HIPCUB_304000_NS8EqualityEEEPlJSF_EEE10hipError_tPvRmT3_T4_T5_T6_T7_T9_mT8_P12ihipStream_tbDpT10_ENKUlT_T0_E_clISt17integral_constantIbLb1EES19_IbLb0EEEEDaS15_S16_EUlS15_E_NS1_11comp_targetILNS1_3genE5ELNS1_11target_archE942ELNS1_3gpuE9ELNS1_3repE0EEENS1_30default_config_static_selectorELNS0_4arch9wavefront6targetE1EEEvT1_: ; @_ZN7rocprim17ROCPRIM_400000_NS6detail17trampoline_kernelINS0_14default_configENS1_25partition_config_selectorILNS1_17partition_subalgoE9EiibEEZZNS1_14partition_implILS5_9ELb0ES3_jPKiN6thrust23THRUST_200600_302600_NS17counting_iteratorIiNSB_11use_defaultESD_SD_EEPNS0_10empty_typeENS0_5tupleIJPiSF_EEENSH_IJSI_SG_EEENS0_18inequality_wrapperIN6hipcub16HIPCUB_304000_NS8EqualityEEEPlJSF_EEE10hipError_tPvRmT3_T4_T5_T6_T7_T9_mT8_P12ihipStream_tbDpT10_ENKUlT_T0_E_clISt17integral_constantIbLb1EES19_IbLb0EEEEDaS15_S16_EUlS15_E_NS1_11comp_targetILNS1_3genE5ELNS1_11target_archE942ELNS1_3gpuE9ELNS1_3repE0EEENS1_30default_config_static_selectorELNS0_4arch9wavefront6targetE1EEEvT1_
; %bb.0:
	.section	.rodata,"a",@progbits
	.p2align	6, 0x0
	.amdhsa_kernel _ZN7rocprim17ROCPRIM_400000_NS6detail17trampoline_kernelINS0_14default_configENS1_25partition_config_selectorILNS1_17partition_subalgoE9EiibEEZZNS1_14partition_implILS5_9ELb0ES3_jPKiN6thrust23THRUST_200600_302600_NS17counting_iteratorIiNSB_11use_defaultESD_SD_EEPNS0_10empty_typeENS0_5tupleIJPiSF_EEENSH_IJSI_SG_EEENS0_18inequality_wrapperIN6hipcub16HIPCUB_304000_NS8EqualityEEEPlJSF_EEE10hipError_tPvRmT3_T4_T5_T6_T7_T9_mT8_P12ihipStream_tbDpT10_ENKUlT_T0_E_clISt17integral_constantIbLb1EES19_IbLb0EEEEDaS15_S16_EUlS15_E_NS1_11comp_targetILNS1_3genE5ELNS1_11target_archE942ELNS1_3gpuE9ELNS1_3repE0EEENS1_30default_config_static_selectorELNS0_4arch9wavefront6targetE1EEEvT1_
		.amdhsa_group_segment_fixed_size 0
		.amdhsa_private_segment_fixed_size 0
		.amdhsa_kernarg_size 112
		.amdhsa_user_sgpr_count 6
		.amdhsa_user_sgpr_private_segment_buffer 1
		.amdhsa_user_sgpr_dispatch_ptr 0
		.amdhsa_user_sgpr_queue_ptr 0
		.amdhsa_user_sgpr_kernarg_segment_ptr 1
		.amdhsa_user_sgpr_dispatch_id 0
		.amdhsa_user_sgpr_flat_scratch_init 0
		.amdhsa_user_sgpr_kernarg_preload_length 0
		.amdhsa_user_sgpr_kernarg_preload_offset 0
		.amdhsa_user_sgpr_private_segment_size 0
		.amdhsa_uses_dynamic_stack 0
		.amdhsa_system_sgpr_private_segment_wavefront_offset 0
		.amdhsa_system_sgpr_workgroup_id_x 1
		.amdhsa_system_sgpr_workgroup_id_y 0
		.amdhsa_system_sgpr_workgroup_id_z 0
		.amdhsa_system_sgpr_workgroup_info 0
		.amdhsa_system_vgpr_workitem_id 0
		.amdhsa_next_free_vgpr 1
		.amdhsa_next_free_sgpr 0
		.amdhsa_accum_offset 4
		.amdhsa_reserve_vcc 0
		.amdhsa_reserve_flat_scratch 0
		.amdhsa_float_round_mode_32 0
		.amdhsa_float_round_mode_16_64 0
		.amdhsa_float_denorm_mode_32 3
		.amdhsa_float_denorm_mode_16_64 3
		.amdhsa_dx10_clamp 1
		.amdhsa_ieee_mode 1
		.amdhsa_fp16_overflow 0
		.amdhsa_tg_split 0
		.amdhsa_exception_fp_ieee_invalid_op 0
		.amdhsa_exception_fp_denorm_src 0
		.amdhsa_exception_fp_ieee_div_zero 0
		.amdhsa_exception_fp_ieee_overflow 0
		.amdhsa_exception_fp_ieee_underflow 0
		.amdhsa_exception_fp_ieee_inexact 0
		.amdhsa_exception_int_div_zero 0
	.end_amdhsa_kernel
	.section	.text._ZN7rocprim17ROCPRIM_400000_NS6detail17trampoline_kernelINS0_14default_configENS1_25partition_config_selectorILNS1_17partition_subalgoE9EiibEEZZNS1_14partition_implILS5_9ELb0ES3_jPKiN6thrust23THRUST_200600_302600_NS17counting_iteratorIiNSB_11use_defaultESD_SD_EEPNS0_10empty_typeENS0_5tupleIJPiSF_EEENSH_IJSI_SG_EEENS0_18inequality_wrapperIN6hipcub16HIPCUB_304000_NS8EqualityEEEPlJSF_EEE10hipError_tPvRmT3_T4_T5_T6_T7_T9_mT8_P12ihipStream_tbDpT10_ENKUlT_T0_E_clISt17integral_constantIbLb1EES19_IbLb0EEEEDaS15_S16_EUlS15_E_NS1_11comp_targetILNS1_3genE5ELNS1_11target_archE942ELNS1_3gpuE9ELNS1_3repE0EEENS1_30default_config_static_selectorELNS0_4arch9wavefront6targetE1EEEvT1_,"axG",@progbits,_ZN7rocprim17ROCPRIM_400000_NS6detail17trampoline_kernelINS0_14default_configENS1_25partition_config_selectorILNS1_17partition_subalgoE9EiibEEZZNS1_14partition_implILS5_9ELb0ES3_jPKiN6thrust23THRUST_200600_302600_NS17counting_iteratorIiNSB_11use_defaultESD_SD_EEPNS0_10empty_typeENS0_5tupleIJPiSF_EEENSH_IJSI_SG_EEENS0_18inequality_wrapperIN6hipcub16HIPCUB_304000_NS8EqualityEEEPlJSF_EEE10hipError_tPvRmT3_T4_T5_T6_T7_T9_mT8_P12ihipStream_tbDpT10_ENKUlT_T0_E_clISt17integral_constantIbLb1EES19_IbLb0EEEEDaS15_S16_EUlS15_E_NS1_11comp_targetILNS1_3genE5ELNS1_11target_archE942ELNS1_3gpuE9ELNS1_3repE0EEENS1_30default_config_static_selectorELNS0_4arch9wavefront6targetE1EEEvT1_,comdat
.Lfunc_end28:
	.size	_ZN7rocprim17ROCPRIM_400000_NS6detail17trampoline_kernelINS0_14default_configENS1_25partition_config_selectorILNS1_17partition_subalgoE9EiibEEZZNS1_14partition_implILS5_9ELb0ES3_jPKiN6thrust23THRUST_200600_302600_NS17counting_iteratorIiNSB_11use_defaultESD_SD_EEPNS0_10empty_typeENS0_5tupleIJPiSF_EEENSH_IJSI_SG_EEENS0_18inequality_wrapperIN6hipcub16HIPCUB_304000_NS8EqualityEEEPlJSF_EEE10hipError_tPvRmT3_T4_T5_T6_T7_T9_mT8_P12ihipStream_tbDpT10_ENKUlT_T0_E_clISt17integral_constantIbLb1EES19_IbLb0EEEEDaS15_S16_EUlS15_E_NS1_11comp_targetILNS1_3genE5ELNS1_11target_archE942ELNS1_3gpuE9ELNS1_3repE0EEENS1_30default_config_static_selectorELNS0_4arch9wavefront6targetE1EEEvT1_, .Lfunc_end28-_ZN7rocprim17ROCPRIM_400000_NS6detail17trampoline_kernelINS0_14default_configENS1_25partition_config_selectorILNS1_17partition_subalgoE9EiibEEZZNS1_14partition_implILS5_9ELb0ES3_jPKiN6thrust23THRUST_200600_302600_NS17counting_iteratorIiNSB_11use_defaultESD_SD_EEPNS0_10empty_typeENS0_5tupleIJPiSF_EEENSH_IJSI_SG_EEENS0_18inequality_wrapperIN6hipcub16HIPCUB_304000_NS8EqualityEEEPlJSF_EEE10hipError_tPvRmT3_T4_T5_T6_T7_T9_mT8_P12ihipStream_tbDpT10_ENKUlT_T0_E_clISt17integral_constantIbLb1EES19_IbLb0EEEEDaS15_S16_EUlS15_E_NS1_11comp_targetILNS1_3genE5ELNS1_11target_archE942ELNS1_3gpuE9ELNS1_3repE0EEENS1_30default_config_static_selectorELNS0_4arch9wavefront6targetE1EEEvT1_
                                        ; -- End function
	.section	.AMDGPU.csdata,"",@progbits
; Kernel info:
; codeLenInByte = 0
; NumSgprs: 4
; NumVgprs: 0
; NumAgprs: 0
; TotalNumVgprs: 0
; ScratchSize: 0
; MemoryBound: 0
; FloatMode: 240
; IeeeMode: 1
; LDSByteSize: 0 bytes/workgroup (compile time only)
; SGPRBlocks: 0
; VGPRBlocks: 0
; NumSGPRsForWavesPerEU: 4
; NumVGPRsForWavesPerEU: 1
; AccumOffset: 4
; Occupancy: 8
; WaveLimiterHint : 0
; COMPUTE_PGM_RSRC2:SCRATCH_EN: 0
; COMPUTE_PGM_RSRC2:USER_SGPR: 6
; COMPUTE_PGM_RSRC2:TRAP_HANDLER: 0
; COMPUTE_PGM_RSRC2:TGID_X_EN: 1
; COMPUTE_PGM_RSRC2:TGID_Y_EN: 0
; COMPUTE_PGM_RSRC2:TGID_Z_EN: 0
; COMPUTE_PGM_RSRC2:TIDIG_COMP_CNT: 0
; COMPUTE_PGM_RSRC3_GFX90A:ACCUM_OFFSET: 0
; COMPUTE_PGM_RSRC3_GFX90A:TG_SPLIT: 0
	.section	.text._ZN7rocprim17ROCPRIM_400000_NS6detail17trampoline_kernelINS0_14default_configENS1_25partition_config_selectorILNS1_17partition_subalgoE9EiibEEZZNS1_14partition_implILS5_9ELb0ES3_jPKiN6thrust23THRUST_200600_302600_NS17counting_iteratorIiNSB_11use_defaultESD_SD_EEPNS0_10empty_typeENS0_5tupleIJPiSF_EEENSH_IJSI_SG_EEENS0_18inequality_wrapperIN6hipcub16HIPCUB_304000_NS8EqualityEEEPlJSF_EEE10hipError_tPvRmT3_T4_T5_T6_T7_T9_mT8_P12ihipStream_tbDpT10_ENKUlT_T0_E_clISt17integral_constantIbLb1EES19_IbLb0EEEEDaS15_S16_EUlS15_E_NS1_11comp_targetILNS1_3genE4ELNS1_11target_archE910ELNS1_3gpuE8ELNS1_3repE0EEENS1_30default_config_static_selectorELNS0_4arch9wavefront6targetE1EEEvT1_,"axG",@progbits,_ZN7rocprim17ROCPRIM_400000_NS6detail17trampoline_kernelINS0_14default_configENS1_25partition_config_selectorILNS1_17partition_subalgoE9EiibEEZZNS1_14partition_implILS5_9ELb0ES3_jPKiN6thrust23THRUST_200600_302600_NS17counting_iteratorIiNSB_11use_defaultESD_SD_EEPNS0_10empty_typeENS0_5tupleIJPiSF_EEENSH_IJSI_SG_EEENS0_18inequality_wrapperIN6hipcub16HIPCUB_304000_NS8EqualityEEEPlJSF_EEE10hipError_tPvRmT3_T4_T5_T6_T7_T9_mT8_P12ihipStream_tbDpT10_ENKUlT_T0_E_clISt17integral_constantIbLb1EES19_IbLb0EEEEDaS15_S16_EUlS15_E_NS1_11comp_targetILNS1_3genE4ELNS1_11target_archE910ELNS1_3gpuE8ELNS1_3repE0EEENS1_30default_config_static_selectorELNS0_4arch9wavefront6targetE1EEEvT1_,comdat
	.protected	_ZN7rocprim17ROCPRIM_400000_NS6detail17trampoline_kernelINS0_14default_configENS1_25partition_config_selectorILNS1_17partition_subalgoE9EiibEEZZNS1_14partition_implILS5_9ELb0ES3_jPKiN6thrust23THRUST_200600_302600_NS17counting_iteratorIiNSB_11use_defaultESD_SD_EEPNS0_10empty_typeENS0_5tupleIJPiSF_EEENSH_IJSI_SG_EEENS0_18inequality_wrapperIN6hipcub16HIPCUB_304000_NS8EqualityEEEPlJSF_EEE10hipError_tPvRmT3_T4_T5_T6_T7_T9_mT8_P12ihipStream_tbDpT10_ENKUlT_T0_E_clISt17integral_constantIbLb1EES19_IbLb0EEEEDaS15_S16_EUlS15_E_NS1_11comp_targetILNS1_3genE4ELNS1_11target_archE910ELNS1_3gpuE8ELNS1_3repE0EEENS1_30default_config_static_selectorELNS0_4arch9wavefront6targetE1EEEvT1_ ; -- Begin function _ZN7rocprim17ROCPRIM_400000_NS6detail17trampoline_kernelINS0_14default_configENS1_25partition_config_selectorILNS1_17partition_subalgoE9EiibEEZZNS1_14partition_implILS5_9ELb0ES3_jPKiN6thrust23THRUST_200600_302600_NS17counting_iteratorIiNSB_11use_defaultESD_SD_EEPNS0_10empty_typeENS0_5tupleIJPiSF_EEENSH_IJSI_SG_EEENS0_18inequality_wrapperIN6hipcub16HIPCUB_304000_NS8EqualityEEEPlJSF_EEE10hipError_tPvRmT3_T4_T5_T6_T7_T9_mT8_P12ihipStream_tbDpT10_ENKUlT_T0_E_clISt17integral_constantIbLb1EES19_IbLb0EEEEDaS15_S16_EUlS15_E_NS1_11comp_targetILNS1_3genE4ELNS1_11target_archE910ELNS1_3gpuE8ELNS1_3repE0EEENS1_30default_config_static_selectorELNS0_4arch9wavefront6targetE1EEEvT1_
	.globl	_ZN7rocprim17ROCPRIM_400000_NS6detail17trampoline_kernelINS0_14default_configENS1_25partition_config_selectorILNS1_17partition_subalgoE9EiibEEZZNS1_14partition_implILS5_9ELb0ES3_jPKiN6thrust23THRUST_200600_302600_NS17counting_iteratorIiNSB_11use_defaultESD_SD_EEPNS0_10empty_typeENS0_5tupleIJPiSF_EEENSH_IJSI_SG_EEENS0_18inequality_wrapperIN6hipcub16HIPCUB_304000_NS8EqualityEEEPlJSF_EEE10hipError_tPvRmT3_T4_T5_T6_T7_T9_mT8_P12ihipStream_tbDpT10_ENKUlT_T0_E_clISt17integral_constantIbLb1EES19_IbLb0EEEEDaS15_S16_EUlS15_E_NS1_11comp_targetILNS1_3genE4ELNS1_11target_archE910ELNS1_3gpuE8ELNS1_3repE0EEENS1_30default_config_static_selectorELNS0_4arch9wavefront6targetE1EEEvT1_
	.p2align	8
	.type	_ZN7rocprim17ROCPRIM_400000_NS6detail17trampoline_kernelINS0_14default_configENS1_25partition_config_selectorILNS1_17partition_subalgoE9EiibEEZZNS1_14partition_implILS5_9ELb0ES3_jPKiN6thrust23THRUST_200600_302600_NS17counting_iteratorIiNSB_11use_defaultESD_SD_EEPNS0_10empty_typeENS0_5tupleIJPiSF_EEENSH_IJSI_SG_EEENS0_18inequality_wrapperIN6hipcub16HIPCUB_304000_NS8EqualityEEEPlJSF_EEE10hipError_tPvRmT3_T4_T5_T6_T7_T9_mT8_P12ihipStream_tbDpT10_ENKUlT_T0_E_clISt17integral_constantIbLb1EES19_IbLb0EEEEDaS15_S16_EUlS15_E_NS1_11comp_targetILNS1_3genE4ELNS1_11target_archE910ELNS1_3gpuE8ELNS1_3repE0EEENS1_30default_config_static_selectorELNS0_4arch9wavefront6targetE1EEEvT1_,@function
_ZN7rocprim17ROCPRIM_400000_NS6detail17trampoline_kernelINS0_14default_configENS1_25partition_config_selectorILNS1_17partition_subalgoE9EiibEEZZNS1_14partition_implILS5_9ELb0ES3_jPKiN6thrust23THRUST_200600_302600_NS17counting_iteratorIiNSB_11use_defaultESD_SD_EEPNS0_10empty_typeENS0_5tupleIJPiSF_EEENSH_IJSI_SG_EEENS0_18inequality_wrapperIN6hipcub16HIPCUB_304000_NS8EqualityEEEPlJSF_EEE10hipError_tPvRmT3_T4_T5_T6_T7_T9_mT8_P12ihipStream_tbDpT10_ENKUlT_T0_E_clISt17integral_constantIbLb1EES19_IbLb0EEEEDaS15_S16_EUlS15_E_NS1_11comp_targetILNS1_3genE4ELNS1_11target_archE910ELNS1_3gpuE8ELNS1_3repE0EEENS1_30default_config_static_selectorELNS0_4arch9wavefront6targetE1EEEvT1_: ; @_ZN7rocprim17ROCPRIM_400000_NS6detail17trampoline_kernelINS0_14default_configENS1_25partition_config_selectorILNS1_17partition_subalgoE9EiibEEZZNS1_14partition_implILS5_9ELb0ES3_jPKiN6thrust23THRUST_200600_302600_NS17counting_iteratorIiNSB_11use_defaultESD_SD_EEPNS0_10empty_typeENS0_5tupleIJPiSF_EEENSH_IJSI_SG_EEENS0_18inequality_wrapperIN6hipcub16HIPCUB_304000_NS8EqualityEEEPlJSF_EEE10hipError_tPvRmT3_T4_T5_T6_T7_T9_mT8_P12ihipStream_tbDpT10_ENKUlT_T0_E_clISt17integral_constantIbLb1EES19_IbLb0EEEEDaS15_S16_EUlS15_E_NS1_11comp_targetILNS1_3genE4ELNS1_11target_archE910ELNS1_3gpuE8ELNS1_3repE0EEENS1_30default_config_static_selectorELNS0_4arch9wavefront6targetE1EEEvT1_
; %bb.0:
	s_load_dwordx2 s[10:11], s[4:5], 0x50
	s_load_dwordx4 s[0:3], s[4:5], 0x8
	s_load_dwordx4 s[20:23], s[4:5], 0x40
	s_load_dword s7, s[4:5], 0x68
	s_waitcnt lgkmcnt(0)
	v_mov_b32_e32 v3, s11
	s_lshl_b64 s[8:9], s[2:3], 2
	s_add_u32 s12, s0, s8
	s_mul_i32 s0, s7, 0x540
	s_addc_u32 s13, s1, s9
	s_add_i32 s1, s0, s2
	s_add_i32 s11, s7, -1
	s_sub_i32 s7, s10, s1
	s_add_u32 s0, s2, s0
	s_addc_u32 s1, s3, 0
	v_mov_b32_e32 v2, s10
	s_cmp_eq_u32 s6, s11
	s_load_dwordx2 s[22:23], s[22:23], 0x0
	v_cmp_ge_u64_e32 vcc, s[0:1], v[2:3]
	s_cselect_b64 s[24:25], -1, 0
	s_mul_i32 s8, s6, 0x540
	s_mov_b32 s9, 0
	s_and_b64 s[16:17], s[24:25], vcc
	s_xor_b64 s[26:27], s[16:17], -1
	s_lshl_b64 s[0:1], s[8:9], 2
	s_add_u32 s0, s12, s0
	s_mov_b64 s[10:11], -1
	s_addc_u32 s1, s13, s1
	s_and_b64 vcc, exec, s[26:27]
	s_cbranch_vccz .LBB29_2
; %bb.1:
	v_lshlrev_b32_e32 v1, 2, v0
	v_mov_b32_e32 v2, s1
	v_add_co_u32_e32 v3, vcc, s0, v1
	v_addc_co_u32_e32 v4, vcc, 0, v2, vcc
	v_add_co_u32_e32 v2, vcc, 0x1000, v3
	v_addc_co_u32_e32 v3, vcc, 0, v4, vcc
	global_load_dword v4, v1, s[0:1]
	global_load_dword v5, v1, s[0:1] offset:768
	global_load_dword v6, v1, s[0:1] offset:1536
	global_load_dword v7, v1, s[0:1] offset:2304
	global_load_dword v8, v1, s[0:1] offset:3072
	global_load_dword v9, v1, s[0:1] offset:3840
	global_load_dword v10, v[2:3], off offset:512
	s_mov_b64 s[10:11], 0
	s_waitcnt vmcnt(5)
	ds_write2st64_b32 v1, v4, v5 offset1:3
	s_waitcnt vmcnt(3)
	ds_write2st64_b32 v1, v6, v7 offset0:6 offset1:9
	s_waitcnt vmcnt(1)
	ds_write2st64_b32 v1, v8, v9 offset0:12 offset1:15
	s_waitcnt vmcnt(0)
	ds_write_b32 v1, v10 offset:4608
	s_waitcnt lgkmcnt(0)
	s_barrier
.LBB29_2:
	s_load_dword s9, s[4:5], 0x18
	s_andn2_b64 vcc, exec, s[10:11]
	s_addk_i32 s7, 0x540
	s_cbranch_vccnz .LBB29_18
; %bb.3:
	v_cmp_gt_u32_e32 vcc, s7, v0
                                        ; implicit-def: $vgpr2_vgpr3_vgpr4_vgpr5_vgpr6_vgpr7_vgpr8
	s_and_saveexec_b64 s[10:11], vcc
	s_cbranch_execz .LBB29_5
; %bb.4:
	v_lshlrev_b32_e32 v1, 2, v0
	global_load_dword v2, v1, s[0:1]
.LBB29_5:
	s_or_b64 exec, exec, s[10:11]
	v_add_u32_e32 v1, 0xc0, v0
	v_cmp_gt_u32_e32 vcc, s7, v1
	s_and_saveexec_b64 s[10:11], vcc
	s_cbranch_execz .LBB29_7
; %bb.6:
	v_lshlrev_b32_e32 v1, 2, v0
	global_load_dword v3, v1, s[0:1] offset:768
.LBB29_7:
	s_or_b64 exec, exec, s[10:11]
	v_add_u32_e32 v1, 0x180, v0
	v_cmp_gt_u32_e32 vcc, s7, v1
	s_and_saveexec_b64 s[10:11], vcc
	s_cbranch_execz .LBB29_9
; %bb.8:
	v_lshlrev_b32_e32 v1, 2, v0
	global_load_dword v4, v1, s[0:1] offset:1536
.LBB29_9:
	;; [unrolled: 9-line block ×3, first 2 shown]
	s_or_b64 exec, exec, s[10:11]
	v_or_b32_e32 v1, 0x300, v0
	v_cmp_gt_u32_e32 vcc, s7, v1
	s_and_saveexec_b64 s[10:11], vcc
	s_cbranch_execz .LBB29_13
; %bb.12:
	v_lshlrev_b32_e32 v1, 2, v0
	global_load_dword v6, v1, s[0:1] offset:3072
.LBB29_13:
	s_or_b64 exec, exec, s[10:11]
	v_add_u32_e32 v1, 0x3c0, v0
	v_cmp_gt_u32_e32 vcc, s7, v1
	s_and_saveexec_b64 s[10:11], vcc
	s_cbranch_execz .LBB29_15
; %bb.14:
	v_lshlrev_b32_e32 v1, 2, v0
	global_load_dword v7, v1, s[0:1] offset:3840
.LBB29_15:
	s_or_b64 exec, exec, s[10:11]
	v_add_u32_e32 v1, 0x480, v0
	v_cmp_gt_u32_e32 vcc, s7, v1
	s_and_saveexec_b64 s[10:11], vcc
	s_cbranch_execz .LBB29_17
; %bb.16:
	v_lshlrev_b32_e32 v1, 2, v1
	global_load_dword v8, v1, s[0:1]
.LBB29_17:
	s_or_b64 exec, exec, s[10:11]
	v_lshlrev_b32_e32 v1, 2, v0
	s_waitcnt vmcnt(0)
	ds_write2st64_b32 v1, v2, v3 offset1:3
	ds_write2st64_b32 v1, v4, v5 offset0:6 offset1:9
	ds_write2st64_b32 v1, v6, v7 offset0:12 offset1:15
	ds_write_b32 v1, v8 offset:4608
	s_waitcnt lgkmcnt(0)
	s_barrier
.LBB29_18:
	v_mul_u32_u24_e32 v16, 7, v0
	v_lshlrev_b32_e32 v8, 2, v16
	s_waitcnt lgkmcnt(0)
	ds_read2_b32 v[14:15], v8 offset1:1
	ds_read2_b32 v[12:13], v8 offset0:2 offset1:3
	ds_read2_b32 v[10:11], v8 offset0:4 offset1:5
	ds_read_b32 v32, v8 offset:24
	s_add_i32 s8, s8, s2
	s_add_i32 s8, s8, s9
	v_add_u32_e32 v1, s8, v0
	s_mov_b64 s[8:9], -1
	s_and_b64 vcc, exec, s[26:27]
	s_waitcnt lgkmcnt(0)
	s_barrier
	s_cbranch_vccz .LBB29_20
; %bb.19:
	v_add_u32_e32 v2, 0xc0, v1
	v_lshlrev_b32_e32 v9, 2, v0
	v_add_u32_e32 v3, 0x180, v1
	v_add_u32_e32 v4, 0x240, v1
	;; [unrolled: 1-line block ×5, first 2 shown]
	ds_write2st64_b32 v9, v1, v2 offset1:3
	ds_write2st64_b32 v9, v3, v4 offset0:6 offset1:9
	ds_write2st64_b32 v9, v5, v6 offset0:12 offset1:15
	ds_write_b32 v9, v7 offset:4608
	s_waitcnt lgkmcnt(0)
	s_barrier
	s_mov_b64 s[8:9], 0
.LBB29_20:
	s_andn2_b64 vcc, exec, s[8:9]
	s_cbranch_vccnz .LBB29_22
; %bb.21:
	s_movk_i32 s8, 0xffe8
	v_add_u32_e32 v2, 0xc0, v1
	v_mad_i32_i24 v9, v0, s8, v8
	v_add_u32_e32 v3, 0x180, v1
	v_add_u32_e32 v4, 0x240, v1
	;; [unrolled: 1-line block ×5, first 2 shown]
	ds_write2st64_b32 v9, v1, v2 offset1:3
	ds_write2st64_b32 v9, v3, v4 offset0:6 offset1:9
	ds_write2st64_b32 v9, v5, v6 offset0:12 offset1:15
	ds_write_b32 v9, v7 offset:4608
	s_waitcnt lgkmcnt(0)
	s_barrier
.LBB29_22:
	ds_read2_b32 v[6:7], v8 offset1:1
	ds_read2_b32 v[4:5], v8 offset0:2 offset1:3
	ds_read2_b32 v[2:3], v8 offset0:4 offset1:5
	ds_read_b32 v1, v8 offset:24
	s_cmp_lg_u32 s6, 0
	s_cselect_b64 s[30:31], -1, 0
	s_cmp_lg_u64 s[2:3], 0
	s_cselect_b64 s[2:3], -1, 0
	s_or_b64 s[2:3], s[30:31], s[2:3]
	v_add_u32_e32 v22, 1, v16
	v_add_u32_e32 v21, 2, v16
	;; [unrolled: 1-line block ×6, first 2 shown]
	s_mov_b64 s[18:19], 0
	s_and_b64 vcc, exec, s[2:3]
	s_waitcnt lgkmcnt(0)
	s_barrier
	s_cbranch_vccz .LBB29_27
; %bb.23:
	s_add_u32 s0, s0, -4
	s_addc_u32 s1, s1, -1
	s_load_dword s8, s[0:1], 0x0
	v_lshlrev_b32_e32 v9, 2, v0
	s_and_b64 vcc, exec, s[26:27]
	ds_write_b32 v9, v32
	s_cbranch_vccz .LBB29_29
; %bb.24:
	v_cmp_ne_u32_e32 vcc, 0, v0
	s_waitcnt lgkmcnt(0)
	v_mov_b32_e32 v26, s8
	s_barrier
	s_and_saveexec_b64 s[0:1], vcc
	s_cbranch_execz .LBB29_26
; %bb.25:
	v_add_u32_e32 v23, -4, v9
	ds_read_b32 v26, v23
.LBB29_26:
	s_or_b64 exec, exec, s[0:1]
	v_cmp_ne_u32_e32 vcc, v11, v32
	v_cndmask_b32_e64 v25, 0, 1, vcc
	v_cmp_ne_u32_e32 vcc, v10, v11
	v_cndmask_b32_e64 v23, 0, 1, vcc
	;; [unrolled: 2-line block ×6, first 2 shown]
	s_waitcnt lgkmcnt(0)
	v_cmp_ne_u32_e64 s[0:1], v26, v14
	v_lshlrev_b16_e32 v26, 8, v27
	v_or_b32_sdwa v26, v28, v26 dst_sel:WORD_1 dst_unused:UNUSED_PAD src0_sel:DWORD src1_sel:DWORD
	v_lshlrev_b16_e32 v27, 8, v29
	v_or_b32_e32 v26, v27, v26
	s_branch .LBB29_33
.LBB29_27:
                                        ; implicit-def: $sgpr0_sgpr1
                                        ; implicit-def: $vgpr25
                                        ; implicit-def: $vgpr23
                                        ; implicit-def: $vgpr24
                                        ; implicit-def: $vgpr26
	s_branch .LBB29_34
.LBB29_28:
                                        ; implicit-def: $vgpr8_vgpr9
	s_and_saveexec_b64 s[2:3], s[18:19]
	s_cbranch_execnz .LBB29_42
	s_branch .LBB29_43
.LBB29_29:
                                        ; implicit-def: $sgpr0_sgpr1
                                        ; implicit-def: $vgpr25
                                        ; implicit-def: $vgpr23
                                        ; implicit-def: $vgpr24
                                        ; implicit-def: $vgpr26
	s_cbranch_execz .LBB29_33
; %bb.30:
	v_cmp_ne_u32_e32 vcc, 0, v0
	s_waitcnt lgkmcnt(0)
	v_mov_b32_e32 v26, s8
	s_barrier
	s_and_saveexec_b64 s[0:1], vcc
	s_cbranch_execz .LBB29_32
; %bb.31:
	v_add_u32_e32 v9, -4, v9
	ds_read_b32 v26, v9
.LBB29_32:
	s_or_b64 exec, exec, s[0:1]
	v_cmp_gt_u32_e32 vcc, s7, v17
	v_cmp_ne_u32_e64 s[0:1], v11, v32
	s_and_b64 s[0:1], vcc, s[0:1]
	v_cndmask_b32_e64 v25, 0, 1, s[0:1]
	v_cmp_gt_u32_e32 vcc, s7, v18
	v_cmp_ne_u32_e64 s[0:1], v10, v11
	s_and_b64 s[0:1], vcc, s[0:1]
	v_cndmask_b32_e64 v23, 0, 1, s[0:1]
	v_cmp_gt_u32_e32 vcc, s7, v19
	v_cmp_ne_u32_e64 s[0:1], v13, v10
	s_and_b64 s[0:1], vcc, s[0:1]
	v_cndmask_b32_e64 v24, 0, 1, s[0:1]
	v_cmp_gt_u32_e32 vcc, s7, v20
	v_cmp_ne_u32_e64 s[0:1], v12, v13
	s_and_b64 s[0:1], vcc, s[0:1]
	v_cndmask_b32_e64 v9, 0, 1, s[0:1]
	v_cmp_gt_u32_e32 vcc, s7, v21
	v_cmp_ne_u32_e64 s[0:1], v15, v12
	s_and_b64 s[0:1], vcc, s[0:1]
	v_cndmask_b32_e64 v27, 0, 1, s[0:1]
	v_cmp_gt_u32_e32 vcc, s7, v22
	v_cmp_ne_u32_e64 s[0:1], v14, v15
	s_and_b64 s[0:1], vcc, s[0:1]
	v_cndmask_b32_e64 v28, 0, 1, s[0:1]
	v_lshlrev_b16_e32 v9, 8, v9
	v_cmp_gt_u32_e32 vcc, s7, v16
	s_waitcnt lgkmcnt(0)
	v_cmp_ne_u32_e64 s[0:1], v26, v14
	v_or_b32_sdwa v9, v27, v9 dst_sel:WORD_1 dst_unused:UNUSED_PAD src0_sel:DWORD src1_sel:DWORD
	v_lshlrev_b16_e32 v26, 8, v28
	s_and_b64 s[0:1], vcc, s[0:1]
	v_or_b32_e32 v26, v26, v9
.LBB29_33:
	s_mov_b64 s[18:19], -1
	s_cbranch_execnz .LBB29_28
.LBB29_34:
	s_movk_i32 s0, 0xffe8
	v_mad_i32_i24 v27, v0, s0, v8
	s_and_b64 vcc, exec, s[26:27]
	v_cmp_ne_u32_e64 s[0:1], v11, v32
	v_cmp_ne_u32_e64 s[2:3], v10, v11
	;; [unrolled: 1-line block ×3, first 2 shown]
	s_waitcnt lgkmcnt(0)
	v_cmp_ne_u32_e64 s[8:9], v12, v13
	v_cmp_ne_u32_e64 s[10:11], v15, v12
	;; [unrolled: 1-line block ×3, first 2 shown]
	ds_write_b32 v27, v32
	s_cbranch_vccz .LBB29_38
; %bb.35:
	v_cndmask_b32_e64 v23, 0, 1, s[2:3]
	v_cndmask_b32_e64 v8, 0, 1, s[8:9]
	;; [unrolled: 1-line block ×5, first 2 shown]
	v_lshlrev_b16_e32 v9, 8, v23
	v_lshlrev_b16_e32 v8, 8, v8
	v_or_b32_e32 v9, v24, v9
	v_or_b32_sdwa v8, v26, v8 dst_sel:WORD_1 dst_unused:UNUSED_PAD src0_sel:DWORD src1_sel:DWORD
	v_lshlrev_b16_e32 v26, 8, v28
	v_and_b32_e32 v9, 0xffff, v9
	v_cndmask_b32_e64 v25, 0, 1, s[0:1]
	v_or_b32_e32 v26, 1, v26
	v_lshl_or_b32 v9, v25, 16, v9
	v_or_b32_sdwa v8, v26, v8 dst_sel:DWORD dst_unused:UNUSED_PAD src0_sel:WORD_0 src1_sel:DWORD
	v_cmp_ne_u32_e32 vcc, 0, v0
	s_waitcnt lgkmcnt(0)
	s_barrier
	s_waitcnt lgkmcnt(0)
                                        ; implicit-def: $sgpr0_sgpr1
                                        ; implicit-def: $vgpr26
	s_and_saveexec_b64 s[2:3], vcc
	s_xor_b64 s[2:3], exec, s[2:3]
	s_cbranch_execz .LBB29_37
; %bb.36:
	v_add_u32_e32 v9, -4, v27
	ds_read_b32 v9, v9
	s_mov_b32 s0, 0x3020104
	v_perm_b32 v26, v8, v8, s0
	s_or_b64 s[18:19], s[18:19], exec
	s_waitcnt lgkmcnt(0)
	v_cmp_ne_u32_e32 vcc, v9, v14
	s_and_b64 s[0:1], vcc, exec
                                        ; implicit-def: $vgpr8_vgpr9
.LBB29_37:
	s_or_b64 exec, exec, s[2:3]
	s_branch .LBB29_41
.LBB29_38:
                                        ; implicit-def: $sgpr0_sgpr1
                                        ; implicit-def: $vgpr25
                                        ; implicit-def: $vgpr23
                                        ; implicit-def: $vgpr24
                                        ; implicit-def: $vgpr26
                                        ; implicit-def: $vgpr8_vgpr9
	s_cbranch_execz .LBB29_41
; %bb.39:
	v_cmp_gt_u32_e64 s[2:3], s7, v18
	v_cmp_ne_u32_e64 s[8:9], v10, v11
	s_and_b64 s[2:3], s[2:3], s[8:9]
	v_cndmask_b32_e64 v23, 0, 1, s[2:3]
	v_cmp_gt_u32_e64 s[2:3], s7, v19
	v_cmp_ne_u32_e64 s[8:9], v13, v10
	s_and_b64 s[2:3], s[2:3], s[8:9]
	v_cndmask_b32_e64 v24, 0, 1, s[2:3]
	v_cmp_gt_u32_e64 s[2:3], s7, v20
	v_cmp_ne_u32_e64 s[8:9], v12, v13
	s_and_b64 s[2:3], s[2:3], s[8:9]
	v_cndmask_b32_e64 v8, 0, 1, s[2:3]
	v_cmp_gt_u32_e64 s[2:3], s7, v21
	v_cmp_ne_u32_e64 s[8:9], v15, v12
	s_and_b64 s[2:3], s[2:3], s[8:9]
	v_cndmask_b32_e64 v26, 0, 1, s[2:3]
	v_cmp_gt_u32_e64 s[2:3], s7, v22
	v_cmp_ne_u32_e64 s[8:9], v14, v15
	s_and_b64 s[2:3], s[2:3], s[8:9]
	v_cmp_gt_u32_e32 vcc, s7, v17
	v_cmp_ne_u32_e64 s[0:1], v11, v32
	v_cndmask_b32_e64 v28, 0, 1, s[2:3]
	v_lshlrev_b16_e32 v9, 8, v23
	v_lshlrev_b16_e32 v8, 8, v8
	v_or_b32_e32 v9, v24, v9
	s_and_b64 s[0:1], vcc, s[0:1]
	v_or_b32_sdwa v8, v26, v8 dst_sel:WORD_1 dst_unused:UNUSED_PAD src0_sel:DWORD src1_sel:DWORD
	v_lshlrev_b16_e32 v26, 8, v28
	v_and_b32_e32 v9, 0xffff, v9
	v_cndmask_b32_e64 v25, 0, 1, s[0:1]
	v_or_b32_e32 v26, 1, v26
	v_lshl_or_b32 v9, v25, 16, v9
	v_or_b32_sdwa v8, v26, v8 dst_sel:DWORD dst_unused:UNUSED_PAD src0_sel:WORD_0 src1_sel:DWORD
	v_cmp_ne_u32_e32 vcc, 0, v0
	s_waitcnt lgkmcnt(0)
	s_barrier
	s_waitcnt lgkmcnt(0)
                                        ; implicit-def: $sgpr0_sgpr1
                                        ; implicit-def: $vgpr26
	s_and_saveexec_b64 s[2:3], vcc
	s_cbranch_execz .LBB29_173
; %bb.40:
	v_add_u32_e32 v9, -4, v27
	ds_read_b32 v9, v9
	s_mov_b32 s0, 0x3020104
	v_cmp_gt_u32_e32 vcc, s7, v16
	v_perm_b32 v26, v8, v8, s0
	s_or_b64 s[18:19], s[18:19], exec
	s_waitcnt lgkmcnt(0)
	v_cmp_ne_u32_e64 s[0:1], v9, v14
	s_and_b64 s[0:1], vcc, s[0:1]
	s_and_b64 s[0:1], s[0:1], exec
                                        ; implicit-def: $vgpr8_vgpr9
	s_or_b64 exec, exec, s[2:3]
.LBB29_41:
	s_and_saveexec_b64 s[2:3], s[18:19]
	s_cbranch_execz .LBB29_43
.LBB29_42:
	v_lshlrev_b16_e32 v9, 8, v23
	v_and_b32_e32 v23, 0xff, v25
	v_or_b32_sdwa v9, v24, v9 dst_sel:DWORD dst_unused:UNUSED_PAD src0_sel:BYTE_0 src1_sel:DWORD
	v_lshlrev_b32_e32 v23, 16, v23
	v_cndmask_b32_e64 v8, 0, 1, s[0:1]
	s_movk_i32 s0, 0xff
	v_or_b32_sdwa v9, v9, v23 dst_sel:DWORD dst_unused:UNUSED_PAD src0_sel:WORD_0 src1_sel:DWORD
	v_lshrrev_b32_e32 v23, 24, v26
	v_lshlrev_b16_e32 v23, 8, v23
	v_and_b32_sdwa v24, v26, s0 dst_sel:DWORD dst_unused:UNUSED_PAD src0_sel:WORD_1 src1_sel:DWORD
	v_or_b32_sdwa v23, v24, v23 dst_sel:WORD_1 dst_unused:UNUSED_PAD src0_sel:DWORD src1_sel:DWORD
	v_mov_b32_e32 v24, 8
	v_lshrrev_b32_sdwa v24, v24, v26 dst_sel:BYTE_1 dst_unused:UNUSED_PAD src0_sel:DWORD src1_sel:DWORD
	v_or_b32_e32 v8, v8, v24
	v_or_b32_sdwa v8, v8, v23 dst_sel:DWORD dst_unused:UNUSED_PAD src0_sel:WORD_0 src1_sel:DWORD
.LBB29_43:
	s_or_b64 exec, exec, s[2:3]
	s_load_dwordx2 s[28:29], s[4:5], 0x60
	s_andn2_b64 vcc, exec, s[16:17]
	s_cbranch_vccnz .LBB29_45
; %bb.44:
	v_and_b32_e32 v23, 0xffff0000, v8
	v_cmp_gt_u32_e32 vcc, s7, v16
	v_cndmask_b32_e32 v16, v23, v8, vcc
	v_and_b32_e32 v16, 0xffff00ff, v16
	v_cmp_gt_u32_e32 vcc, s7, v22
	v_cndmask_b32_e32 v16, v16, v8, vcc
	v_lshrrev_b32_e32 v22, 24, v16
	s_mov_b32 s0, 0x40c0100
	v_perm_b32 v16, v22, v16, s0
	v_cmp_gt_u32_e32 vcc, s7, v21
	v_cndmask_b32_e32 v16, v16, v8, vcc
	v_and_b32_e32 v16, 0xffffff, v16
	v_cmp_gt_u32_e32 vcc, s7, v20
	v_cndmask_b32_e32 v16, v16, v8, vcc
	v_and_b32_e32 v20, 0xffffff00, v9
	;; [unrolled: 3-line block ×3, first 2 shown]
	v_cndmask_b32_e32 v16, v16, v8, vcc
	v_cmp_gt_u32_e32 vcc, s7, v18
	v_cndmask_b32_e32 v18, v19, v9, vcc
	v_lshrrev_b32_e32 v19, 24, v18
	v_cndmask_b32_e32 v16, v16, v8, vcc
	v_perm_b32 v18, v19, v18, s0
	v_cmp_gt_u32_e32 vcc, s7, v17
	v_cndmask_b32_e32 v8, v16, v8, vcc
	v_cndmask_b32_e32 v9, v18, v9, vcc
	v_mov_b32_e32 v16, 8
	v_lshrrev_b32_sdwa v16, v16, v9 dst_sel:BYTE_1 dst_unused:UNUSED_PAD src0_sel:DWORD src1_sel:DWORD
	v_or_b32_sdwa v16, v9, v16 dst_sel:DWORD dst_unused:UNUSED_PAD src0_sel:BYTE_0 src1_sel:DWORD
	v_and_b32_e32 v16, 0xffff, v16
	v_bfe_u32 v9, v9, 16, 8
	s_mov_b32 s0, 0x3020104
	v_lshl_or_b32 v9, v9, 16, v16
	v_perm_b32 v8, v8, v8, s0
.LBB29_45:
	v_and_b32_e32 v27, 0xff, v8
	v_bfe_u32 v29, v8, 8, 8
	v_bfe_u32 v31, v8, 16, 8
	v_alignbit_b32 v16, v9, v8, 24
	v_and_b32_e32 v33, 0xff, v16
	v_and_b32_e32 v34, 0xff, v9
	v_add3_u32 v17, v29, v27, v31
	v_bfe_u32 v35, v9, 8, 8
	v_bfe_u32 v16, v9, 16, 8
	v_add3_u32 v17, v17, v33, v34
	v_add3_u32 v38, v17, v35, v16
	v_mbcnt_lo_u32_b32 v16, -1, 0
	v_mbcnt_hi_u32_b32 v36, -1, v16
	v_and_b32_e32 v16, 15, v36
	v_cmp_eq_u32_e64 s[14:15], 0, v16
	v_cmp_lt_u32_e64 s[12:13], 1, v16
	v_cmp_lt_u32_e64 s[10:11], 3, v16
	s_waitcnt lgkmcnt(0)
	v_cmp_lt_u32_e64 s[8:9], 7, v16
	v_and_b32_e32 v16, 16, v36
	v_cmp_eq_u32_e64 s[2:3], 0, v16
	v_and_b32_e32 v16, 0xc0, v0
	v_min_u32_e32 v16, 0x80, v16
	v_or_b32_e32 v16, 63, v16
	v_cmp_lt_u32_e64 s[0:1], 31, v36
	v_lshrrev_b32_e32 v37, 6, v0
	v_cmp_eq_u32_e64 s[18:19], v16, v0
	s_and_b64 vcc, exec, s[30:31]
	s_barrier
	s_cbranch_vccz .LBB29_76
; %bb.46:
	v_mov_b32_dpp v16, v38 row_shr:1 row_mask:0xf bank_mask:0xf
	v_cndmask_b32_e64 v16, v16, 0, s[14:15]
	v_add_u32_e32 v16, v16, v38
	s_nop 1
	v_mov_b32_dpp v17, v16 row_shr:2 row_mask:0xf bank_mask:0xf
	v_cndmask_b32_e64 v17, 0, v17, s[12:13]
	v_add_u32_e32 v16, v16, v17
	s_nop 1
	;; [unrolled: 4-line block ×4, first 2 shown]
	v_mov_b32_dpp v17, v16 row_bcast:15 row_mask:0xf bank_mask:0xf
	v_cndmask_b32_e64 v17, v17, 0, s[2:3]
	v_add_u32_e32 v16, v16, v17
	s_nop 1
	v_mov_b32_dpp v17, v16 row_bcast:31 row_mask:0xf bank_mask:0xf
	v_cndmask_b32_e64 v17, 0, v17, s[0:1]
	v_add_u32_e32 v16, v16, v17
	s_and_saveexec_b64 s[16:17], s[18:19]
	s_cbranch_execz .LBB29_48
; %bb.47:
	v_lshlrev_b32_e32 v17, 2, v37
	ds_write_b32 v17, v16
.LBB29_48:
	s_or_b64 exec, exec, s[16:17]
	v_cmp_gt_u32_e32 vcc, 3, v0
	s_waitcnt lgkmcnt(0)
	s_barrier
	s_and_saveexec_b64 s[16:17], vcc
	s_cbranch_execz .LBB29_50
; %bb.49:
	v_lshlrev_b32_e32 v17, 2, v0
	ds_read_b32 v18, v17
	v_and_b32_e32 v19, 3, v36
	v_cmp_ne_u32_e32 vcc, 0, v19
	s_waitcnt lgkmcnt(0)
	v_mov_b32_dpp v20, v18 row_shr:1 row_mask:0xf bank_mask:0xf
	v_cndmask_b32_e32 v20, 0, v20, vcc
	v_add_u32_e32 v18, v20, v18
	v_cmp_lt_u32_e32 vcc, 1, v19
	s_nop 0
	v_mov_b32_dpp v20, v18 row_shr:2 row_mask:0xf bank_mask:0xf
	v_cndmask_b32_e32 v19, 0, v20, vcc
	v_add_u32_e32 v18, v18, v19
	ds_write_b32 v17, v18
.LBB29_50:
	s_or_b64 exec, exec, s[16:17]
	v_cmp_gt_u32_e32 vcc, 64, v0
	v_cmp_lt_u32_e64 s[16:17], 63, v0
	s_waitcnt lgkmcnt(0)
	s_barrier
	s_waitcnt lgkmcnt(0)
                                        ; implicit-def: $vgpr26
	s_and_saveexec_b64 s[30:31], s[16:17]
	s_cbranch_execz .LBB29_52
; %bb.51:
	v_lshl_add_u32 v17, v37, 2, -4
	ds_read_b32 v26, v17
	s_waitcnt lgkmcnt(0)
	v_add_u32_e32 v16, v26, v16
.LBB29_52:
	s_or_b64 exec, exec, s[30:31]
	v_add_u32_e32 v17, -1, v36
	v_and_b32_e32 v18, 64, v36
	v_cmp_lt_i32_e64 s[16:17], v17, v18
	v_cndmask_b32_e64 v17, v17, v36, s[16:17]
	v_lshlrev_b32_e32 v17, 2, v17
	ds_bpermute_b32 v28, v17, v16
	v_cmp_eq_u32_e64 s[16:17], 0, v36
	s_and_saveexec_b64 s[30:31], vcc
	s_cbranch_execz .LBB29_75
; %bb.53:
	v_mov_b32_e32 v25, 0
	ds_read_b32 v16, v25 offset:8
	s_and_saveexec_b64 s[34:35], s[16:17]
	s_cbranch_execz .LBB29_55
; %bb.54:
	s_add_i32 s36, s6, 64
	s_mov_b32 s37, 0
	s_lshl_b64 s[36:37], s[36:37], 3
	s_add_u32 s36, s28, s36
	v_mov_b32_e32 v17, 1
	s_addc_u32 s37, s29, s37
	s_waitcnt lgkmcnt(0)
	global_store_dwordx2 v25, v[16:17], s[36:37]
.LBB29_55:
	s_or_b64 exec, exec, s[34:35]
	v_xad_u32 v18, v36, -1, s6
	v_add_u32_e32 v24, 64, v18
	v_lshlrev_b64 v[20:21], 3, v[24:25]
	v_mov_b32_e32 v17, s29
	v_add_co_u32_e32 v20, vcc, s28, v20
	v_addc_co_u32_e32 v21, vcc, v17, v21, vcc
	global_load_dwordx2 v[22:23], v[20:21], off glc
	s_waitcnt vmcnt(0)
	v_cmp_eq_u16_sdwa s[36:37], v23, v25 src0_sel:BYTE_0 src1_sel:DWORD
	s_and_saveexec_b64 s[34:35], s[36:37]
	s_cbranch_execz .LBB29_61
; %bb.56:
	s_mov_b32 s7, 1
	s_mov_b64 s[36:37], 0
	v_mov_b32_e32 v17, 0
.LBB29_57:                              ; =>This Loop Header: Depth=1
                                        ;     Child Loop BB29_58 Depth 2
	s_max_u32 s33, s7, 1
.LBB29_58:                              ;   Parent Loop BB29_57 Depth=1
                                        ; =>  This Inner Loop Header: Depth=2
	s_add_i32 s33, s33, -1
	s_cmp_eq_u32 s33, 0
	s_sleep 1
	s_cbranch_scc0 .LBB29_58
; %bb.59:                               ;   in Loop: Header=BB29_57 Depth=1
	global_load_dwordx2 v[22:23], v[20:21], off glc
	s_cmp_lt_u32 s7, 32
	s_cselect_b64 s[38:39], -1, 0
	s_cmp_lg_u64 s[38:39], 0
	s_addc_u32 s7, s7, 0
	s_waitcnt vmcnt(0)
	v_cmp_ne_u16_sdwa s[38:39], v23, v17 src0_sel:BYTE_0 src1_sel:DWORD
	s_or_b64 s[36:37], s[38:39], s[36:37]
	s_andn2_b64 exec, exec, s[36:37]
	s_cbranch_execnz .LBB29_57
; %bb.60:
	s_or_b64 exec, exec, s[36:37]
.LBB29_61:
	s_or_b64 exec, exec, s[34:35]
	v_and_b32_e32 v39, 63, v36
	v_mov_b32_e32 v30, 2
	v_cmp_ne_u32_e32 vcc, 63, v39
	v_cmp_eq_u16_sdwa s[34:35], v23, v30 src0_sel:BYTE_0 src1_sel:DWORD
	v_lshlrev_b64 v[20:21], v36, -1
	v_addc_co_u32_e32 v24, vcc, 0, v36, vcc
	v_and_b32_e32 v17, s35, v21
	v_lshlrev_b32_e32 v40, 2, v24
	v_or_b32_e32 v17, 0x80000000, v17
	ds_bpermute_b32 v24, v40, v22
	v_and_b32_e32 v19, s34, v20
	v_ffbl_b32_e32 v17, v17
	v_add_u32_e32 v17, 32, v17
	v_ffbl_b32_e32 v19, v19
	v_min_u32_e32 v17, v19, v17
	v_cmp_lt_u32_e32 vcc, v39, v17
	s_waitcnt lgkmcnt(0)
	v_cndmask_b32_e32 v19, 0, v24, vcc
	v_cmp_gt_u32_e32 vcc, 62, v39
	v_add_u32_e32 v19, v19, v22
	v_cndmask_b32_e64 v22, 0, 1, vcc
	v_lshlrev_b32_e32 v22, 1, v22
	v_add_lshl_u32 v41, v22, v36, 2
	ds_bpermute_b32 v22, v41, v19
	v_add_u32_e32 v42, 2, v39
	v_cmp_le_u32_e32 vcc, v42, v17
	v_add_u32_e32 v44, 4, v39
	v_add_u32_e32 v46, 8, v39
	s_waitcnt lgkmcnt(0)
	v_cndmask_b32_e32 v22, 0, v22, vcc
	v_cmp_gt_u32_e32 vcc, 60, v39
	v_add_u32_e32 v19, v19, v22
	v_cndmask_b32_e64 v22, 0, 1, vcc
	v_lshlrev_b32_e32 v22, 2, v22
	v_add_lshl_u32 v43, v22, v36, 2
	ds_bpermute_b32 v22, v43, v19
	v_cmp_le_u32_e32 vcc, v44, v17
	v_add_u32_e32 v48, 16, v39
	v_add_u32_e32 v50, 32, v39
	s_waitcnt lgkmcnt(0)
	v_cndmask_b32_e32 v22, 0, v22, vcc
	v_cmp_gt_u32_e32 vcc, 56, v39
	v_add_u32_e32 v19, v19, v22
	v_cndmask_b32_e64 v22, 0, 1, vcc
	v_lshlrev_b32_e32 v22, 3, v22
	v_add_lshl_u32 v45, v22, v36, 2
	ds_bpermute_b32 v22, v45, v19
	v_cmp_le_u32_e32 vcc, v46, v17
	s_waitcnt lgkmcnt(0)
	v_cndmask_b32_e32 v22, 0, v22, vcc
	v_cmp_gt_u32_e32 vcc, 48, v39
	v_add_u32_e32 v19, v19, v22
	v_cndmask_b32_e64 v22, 0, 1, vcc
	v_lshlrev_b32_e32 v22, 4, v22
	v_add_lshl_u32 v47, v22, v36, 2
	ds_bpermute_b32 v22, v47, v19
	v_cmp_le_u32_e32 vcc, v48, v17
	;; [unrolled: 9-line block ×3, first 2 shown]
	s_waitcnt lgkmcnt(0)
	v_cndmask_b32_e32 v17, 0, v22, vcc
	v_add_u32_e32 v22, v19, v17
	v_mov_b32_e32 v19, 0
	s_branch .LBB29_63
.LBB29_62:                              ;   in Loop: Header=BB29_63 Depth=1
	s_or_b64 exec, exec, s[34:35]
	v_cmp_eq_u16_sdwa s[34:35], v23, v30 src0_sel:BYTE_0 src1_sel:DWORD
	v_and_b32_e32 v24, s35, v21
	v_or_b32_e32 v24, 0x80000000, v24
	ds_bpermute_b32 v51, v40, v22
	v_and_b32_e32 v25, s34, v20
	v_ffbl_b32_e32 v24, v24
	v_add_u32_e32 v24, 32, v24
	v_ffbl_b32_e32 v25, v25
	v_min_u32_e32 v24, v25, v24
	v_cmp_lt_u32_e32 vcc, v39, v24
	s_waitcnt lgkmcnt(0)
	v_cndmask_b32_e32 v25, 0, v51, vcc
	v_add_u32_e32 v22, v25, v22
	ds_bpermute_b32 v25, v41, v22
	v_cmp_le_u32_e32 vcc, v42, v24
	v_subrev_u32_e32 v18, 64, v18
	s_waitcnt lgkmcnt(0)
	v_cndmask_b32_e32 v25, 0, v25, vcc
	v_add_u32_e32 v22, v22, v25
	ds_bpermute_b32 v25, v43, v22
	v_cmp_le_u32_e32 vcc, v44, v24
	s_waitcnt lgkmcnt(0)
	v_cndmask_b32_e32 v25, 0, v25, vcc
	v_add_u32_e32 v22, v22, v25
	ds_bpermute_b32 v25, v45, v22
	v_cmp_le_u32_e32 vcc, v46, v24
	;; [unrolled: 5-line block ×4, first 2 shown]
	s_waitcnt lgkmcnt(0)
	v_cndmask_b32_e32 v24, 0, v25, vcc
	v_add3_u32 v22, v24, v17, v22
.LBB29_63:                              ; =>This Loop Header: Depth=1
                                        ;     Child Loop BB29_66 Depth 2
                                        ;       Child Loop BB29_67 Depth 3
	v_cmp_ne_u16_sdwa s[34:35], v23, v30 src0_sel:BYTE_0 src1_sel:DWORD
	v_cndmask_b32_e64 v17, 0, 1, s[34:35]
	;;#ASMSTART
	;;#ASMEND
	v_cmp_ne_u32_e32 vcc, 0, v17
	s_cmp_lg_u64 vcc, exec
	v_mov_b32_e32 v17, v22
	s_cbranch_scc1 .LBB29_70
; %bb.64:                               ;   in Loop: Header=BB29_63 Depth=1
	v_lshlrev_b64 v[22:23], 3, v[18:19]
	v_mov_b32_e32 v25, s29
	v_add_co_u32_e32 v24, vcc, s28, v22
	v_addc_co_u32_e32 v25, vcc, v25, v23, vcc
	global_load_dwordx2 v[22:23], v[24:25], off glc
	s_waitcnt vmcnt(0)
	v_cmp_eq_u16_sdwa s[36:37], v23, v19 src0_sel:BYTE_0 src1_sel:DWORD
	s_and_saveexec_b64 s[34:35], s[36:37]
	s_cbranch_execz .LBB29_62
; %bb.65:                               ;   in Loop: Header=BB29_63 Depth=1
	s_mov_b32 s7, 1
	s_mov_b64 s[36:37], 0
.LBB29_66:                              ;   Parent Loop BB29_63 Depth=1
                                        ; =>  This Loop Header: Depth=2
                                        ;       Child Loop BB29_67 Depth 3
	s_max_u32 s33, s7, 1
.LBB29_67:                              ;   Parent Loop BB29_63 Depth=1
                                        ;     Parent Loop BB29_66 Depth=2
                                        ; =>    This Inner Loop Header: Depth=3
	s_add_i32 s33, s33, -1
	s_cmp_eq_u32 s33, 0
	s_sleep 1
	s_cbranch_scc0 .LBB29_67
; %bb.68:                               ;   in Loop: Header=BB29_66 Depth=2
	global_load_dwordx2 v[22:23], v[24:25], off glc
	s_cmp_lt_u32 s7, 32
	s_cselect_b64 s[38:39], -1, 0
	s_cmp_lg_u64 s[38:39], 0
	s_addc_u32 s7, s7, 0
	s_waitcnt vmcnt(0)
	v_cmp_ne_u16_sdwa s[38:39], v23, v19 src0_sel:BYTE_0 src1_sel:DWORD
	s_or_b64 s[36:37], s[38:39], s[36:37]
	s_andn2_b64 exec, exec, s[36:37]
	s_cbranch_execnz .LBB29_66
; %bb.69:                               ;   in Loop: Header=BB29_63 Depth=1
	s_or_b64 exec, exec, s[36:37]
	s_branch .LBB29_62
.LBB29_70:                              ;   in Loop: Header=BB29_63 Depth=1
                                        ; implicit-def: $vgpr22
                                        ; implicit-def: $vgpr23
	s_cbranch_execz .LBB29_63
; %bb.71:
	s_and_saveexec_b64 s[34:35], s[16:17]
	s_cbranch_execz .LBB29_73
; %bb.72:
	s_add_i32 s6, s6, 64
	s_mov_b32 s7, 0
	s_lshl_b64 s[6:7], s[6:7], 3
	s_add_u32 s6, s28, s6
	v_add_u32_e32 v18, v17, v16
	v_mov_b32_e32 v19, 2
	s_addc_u32 s7, s29, s7
	v_mov_b32_e32 v20, 0
	global_store_dwordx2 v20, v[18:19], s[6:7]
	ds_write_b64 v20, v[16:17] offset:5376
.LBB29_73:
	s_or_b64 exec, exec, s[34:35]
	v_cmp_eq_u32_e32 vcc, 0, v0
	s_and_b64 exec, exec, vcc
	s_cbranch_execz .LBB29_75
; %bb.74:
	v_mov_b32_e32 v16, 0
	ds_write_b32 v16, v17 offset:8
.LBB29_75:
	s_or_b64 exec, exec, s[30:31]
	v_mov_b32_e32 v16, 0
	s_waitcnt lgkmcnt(0)
	s_barrier
	ds_read_b32 v17, v16 offset:8
	v_cndmask_b32_e64 v18, v28, v26, s[16:17]
	v_cmp_ne_u32_e32 vcc, 0, v0
	v_cndmask_b32_e32 v18, 0, v18, vcc
	s_waitcnt lgkmcnt(0)
	v_add_u32_e32 v30, v17, v18
	v_add_u32_e32 v28, v30, v27
	s_barrier
	ds_read_b64 v[16:17], v16 offset:5376
	v_add_u32_e32 v26, v28, v29
	v_add_u32_e32 v24, v26, v31
	;; [unrolled: 1-line block ×5, first 2 shown]
	s_waitcnt lgkmcnt(0)
	v_readfirstlane_b32 s30, v16
	v_readfirstlane_b32 s16, v17
	v_lshrrev_b64 v[16:17], 24, v[8:9]
	s_branch .LBB29_86
.LBB29_76:
                                        ; implicit-def: $sgpr16
                                        ; implicit-def: $sgpr30
                                        ; implicit-def: $vgpr18
                                        ; implicit-def: $vgpr20
                                        ; implicit-def: $vgpr22
                                        ; implicit-def: $vgpr24
                                        ; implicit-def: $vgpr26
                                        ; implicit-def: $vgpr28
                                        ; implicit-def: $vgpr30
	v_lshrrev_b64 v[16:17], 24, v[8:9]
	s_cbranch_execz .LBB29_86
; %bb.77:
	s_nop 0
	v_mov_b32_dpp v17, v38 row_shr:1 row_mask:0xf bank_mask:0xf
	v_cndmask_b32_e64 v17, v17, 0, s[14:15]
	v_add_u32_e32 v17, v17, v38
	s_nop 1
	v_mov_b32_dpp v18, v17 row_shr:2 row_mask:0xf bank_mask:0xf
	v_cndmask_b32_e64 v18, 0, v18, s[12:13]
	v_add_u32_e32 v17, v17, v18
	;; [unrolled: 4-line block ×4, first 2 shown]
	s_nop 1
	v_mov_b32_dpp v18, v17 row_bcast:15 row_mask:0xf bank_mask:0xf
	v_cndmask_b32_e64 v18, v18, 0, s[2:3]
	v_add_u32_e32 v17, v17, v18
	s_nop 1
	v_mov_b32_dpp v18, v17 row_bcast:31 row_mask:0xf bank_mask:0xf
	v_cndmask_b32_e64 v18, 0, v18, s[0:1]
	v_add_u32_e32 v17, v17, v18
	s_and_saveexec_b64 s[0:1], s[18:19]
	s_cbranch_execz .LBB29_79
; %bb.78:
	v_lshlrev_b32_e32 v18, 2, v37
	ds_write_b32 v18, v17
.LBB29_79:
	s_or_b64 exec, exec, s[0:1]
	v_cmp_gt_u32_e32 vcc, 3, v0
	s_waitcnt lgkmcnt(0)
	s_barrier
	s_and_saveexec_b64 s[0:1], vcc
	s_cbranch_execz .LBB29_81
; %bb.80:
	v_lshlrev_b32_e32 v18, 2, v0
	ds_read_b32 v19, v18
	v_and_b32_e32 v20, 3, v36
	v_cmp_ne_u32_e32 vcc, 0, v20
	s_waitcnt lgkmcnt(0)
	v_mov_b32_dpp v21, v19 row_shr:1 row_mask:0xf bank_mask:0xf
	v_cndmask_b32_e32 v21, 0, v21, vcc
	v_add_u32_e32 v19, v21, v19
	v_cmp_lt_u32_e32 vcc, 1, v20
	s_nop 0
	v_mov_b32_dpp v21, v19 row_shr:2 row_mask:0xf bank_mask:0xf
	v_cndmask_b32_e32 v20, 0, v21, vcc
	v_add_u32_e32 v19, v19, v20
	ds_write_b32 v18, v19
.LBB29_81:
	s_or_b64 exec, exec, s[0:1]
	v_cmp_lt_u32_e32 vcc, 63, v0
	v_mov_b32_e32 v19, 0
	v_mov_b32_e32 v18, 0
	s_waitcnt lgkmcnt(0)
	s_barrier
	s_and_saveexec_b64 s[0:1], vcc
	s_cbranch_execz .LBB29_83
; %bb.82:
	v_lshl_add_u32 v18, v37, 2, -4
	ds_read_b32 v18, v18
.LBB29_83:
	s_or_b64 exec, exec, s[0:1]
	v_add_u32_e32 v20, -1, v36
	v_and_b32_e32 v21, 64, v36
	v_cmp_lt_i32_e32 vcc, v20, v21
	v_cndmask_b32_e32 v20, v20, v36, vcc
	s_waitcnt lgkmcnt(0)
	v_add_u32_e32 v17, v18, v17
	v_lshlrev_b32_e32 v20, 2, v20
	ds_read_b32 v19, v19 offset:8
	ds_bpermute_b32 v17, v20, v17
	s_mov_b32 s16, 0
	v_cmp_eq_u32_e32 vcc, 0, v0
	s_waitcnt lgkmcnt(1)
	v_readfirstlane_b32 s30, v19
	s_and_saveexec_b64 s[0:1], vcc
	s_cbranch_execz .LBB29_85
; %bb.84:
	v_mov_b32_e32 v19, 0
	v_mov_b32_e32 v20, s30
	;; [unrolled: 1-line block ×3, first 2 shown]
	global_store_dwordx2 v19, v[20:21], s[28:29] offset:512
.LBB29_85:
	s_or_b64 exec, exec, s[0:1]
	v_cmp_eq_u32_e64 s[0:1], 0, v36
	s_waitcnt lgkmcnt(0)
	v_cndmask_b32_e64 v17, v17, v18, s[0:1]
	v_cndmask_b32_e64 v30, v17, 0, vcc
	v_add_u32_e32 v28, v30, v27
	v_add_u32_e32 v26, v28, v29
	;; [unrolled: 1-line block ×6, first 2 shown]
	s_barrier
.LBB29_86:
	s_load_dwordx4 s[4:7], s[4:5], 0x28
	s_cmpk_lt_u32 s30, 0xc1
	s_cselect_b64 s[2:3], -1, 0
	v_lshrrev_b32_e32 v33, 8, v8
	v_lshrrev_b32_e32 v17, 8, v9
	s_mov_b64 s[0:1], -1
	s_and_b64 vcc, exec, s[2:3]
	s_cbranch_vccz .LBB29_109
; %bb.87:
	s_add_i32 s10, s16, s30
	s_lshl_b64 s[0:1], s[22:23], 2
	s_waitcnt lgkmcnt(0)
	s_add_u32 s8, s4, s0
	v_cmp_gt_u32_e32 vcc, s10, v30
	s_addc_u32 s9, s5, s1
	s_or_b64 s[12:13], s[26:27], vcc
	s_and_saveexec_b64 s[0:1], s[12:13]
	s_cbranch_execz .LBB29_90
; %bb.88:
	v_and_b32_e32 v19, 1, v8
	v_cmp_eq_u32_e32 vcc, 1, v19
	s_and_b64 exec, exec, vcc
	s_cbranch_execz .LBB29_90
; %bb.89:
	v_mov_b32_e32 v31, 0
	v_lshlrev_b64 v[34:35], 2, v[30:31]
	v_mov_b32_e32 v19, s9
	v_add_co_u32_e32 v34, vcc, s8, v34
	v_addc_co_u32_e32 v35, vcc, v19, v35, vcc
	global_store_dword v[34:35], v14, off
.LBB29_90:
	s_or_b64 exec, exec, s[0:1]
	v_cmp_gt_u32_e32 vcc, s10, v28
	s_or_b64 s[12:13], s[26:27], vcc
	s_and_saveexec_b64 s[0:1], s[12:13]
	s_cbranch_execz .LBB29_93
; %bb.91:
	v_and_b32_e32 v19, 1, v33
	v_cmp_eq_u32_e32 vcc, 1, v19
	s_and_b64 exec, exec, vcc
	s_cbranch_execz .LBB29_93
; %bb.92:
	v_mov_b32_e32 v29, 0
	v_lshlrev_b64 v[34:35], 2, v[28:29]
	v_mov_b32_e32 v19, s9
	v_add_co_u32_e32 v34, vcc, s8, v34
	v_addc_co_u32_e32 v35, vcc, v19, v35, vcc
	global_store_dword v[34:35], v15, off
.LBB29_93:
	s_or_b64 exec, exec, s[0:1]
	v_cmp_gt_u32_e32 vcc, s10, v26
	s_or_b64 s[12:13], s[26:27], vcc
	s_and_saveexec_b64 s[0:1], s[12:13]
	s_cbranch_execz .LBB29_96
; %bb.94:
	v_mov_b32_e32 v19, 1
	v_and_b32_sdwa v19, v19, v8 dst_sel:DWORD dst_unused:UNUSED_PAD src0_sel:DWORD src1_sel:WORD_1
	v_cmp_eq_u32_e32 vcc, 1, v19
	s_and_b64 exec, exec, vcc
	s_cbranch_execz .LBB29_96
; %bb.95:
	v_mov_b32_e32 v27, 0
	v_lshlrev_b64 v[34:35], 2, v[26:27]
	v_mov_b32_e32 v19, s9
	v_add_co_u32_e32 v34, vcc, s8, v34
	v_addc_co_u32_e32 v35, vcc, v19, v35, vcc
	global_store_dword v[34:35], v12, off
.LBB29_96:
	s_or_b64 exec, exec, s[0:1]
	v_cmp_gt_u32_e32 vcc, s10, v24
	s_or_b64 s[12:13], s[26:27], vcc
	s_and_saveexec_b64 s[0:1], s[12:13]
	s_cbranch_execz .LBB29_99
; %bb.97:
	v_and_b32_e32 v19, 1, v16
	v_cmp_eq_u32_e32 vcc, 1, v19
	s_and_b64 exec, exec, vcc
	s_cbranch_execz .LBB29_99
; %bb.98:
	v_mov_b32_e32 v25, 0
	v_lshlrev_b64 v[34:35], 2, v[24:25]
	v_mov_b32_e32 v19, s9
	v_add_co_u32_e32 v34, vcc, s8, v34
	v_addc_co_u32_e32 v35, vcc, v19, v35, vcc
	global_store_dword v[34:35], v13, off
.LBB29_99:
	s_or_b64 exec, exec, s[0:1]
	v_cmp_gt_u32_e32 vcc, s10, v22
	s_or_b64 s[12:13], s[26:27], vcc
	s_and_saveexec_b64 s[0:1], s[12:13]
	s_cbranch_execz .LBB29_102
; %bb.100:
	v_and_b32_e32 v19, 1, v9
	v_cmp_eq_u32_e32 vcc, 1, v19
	s_and_b64 exec, exec, vcc
	s_cbranch_execz .LBB29_102
; %bb.101:
	v_mov_b32_e32 v23, 0
	v_lshlrev_b64 v[34:35], 2, v[22:23]
	v_mov_b32_e32 v19, s9
	v_add_co_u32_e32 v34, vcc, s8, v34
	v_addc_co_u32_e32 v35, vcc, v19, v35, vcc
	global_store_dword v[34:35], v10, off
.LBB29_102:
	;; [unrolled: 18-line block ×3, first 2 shown]
	s_or_b64 exec, exec, s[0:1]
	v_cmp_gt_u32_e32 vcc, s10, v18
	s_or_b64 s[10:11], s[26:27], vcc
	s_and_saveexec_b64 s[0:1], s[10:11]
	s_cbranch_execz .LBB29_108
; %bb.106:
	v_mov_b32_e32 v19, 1
	v_and_b32_sdwa v19, v19, v9 dst_sel:DWORD dst_unused:UNUSED_PAD src0_sel:DWORD src1_sel:WORD_1
	v_cmp_eq_u32_e32 vcc, 1, v19
	s_and_b64 exec, exec, vcc
	s_cbranch_execz .LBB29_108
; %bb.107:
	v_mov_b32_e32 v19, 0
	v_lshlrev_b64 v[34:35], 2, v[18:19]
	v_mov_b32_e32 v19, s9
	v_add_co_u32_e32 v34, vcc, s8, v34
	v_addc_co_u32_e32 v35, vcc, v19, v35, vcc
	global_store_dword v[34:35], v32, off
.LBB29_108:
	s_or_b64 exec, exec, s[0:1]
	s_mov_b64 s[0:1], 0
.LBB29_109:
	v_and_b32_e32 v34, 1, v8
	s_and_b64 vcc, exec, s[0:1]
	v_cmp_eq_u32_e64 s[0:1], 1, v34
	s_cbranch_vccz .LBB29_128
; %bb.110:
	s_and_saveexec_b64 s[8:9], s[0:1]
	s_cbranch_execz .LBB29_112
; %bb.111:
	v_subrev_u32_e32 v19, s16, v30
	v_lshlrev_b32_e32 v19, 2, v19
	ds_write_b32 v19, v14
.LBB29_112:
	s_or_b64 exec, exec, s[8:9]
	v_and_b32_e32 v14, 1, v33
	v_cmp_eq_u32_e32 vcc, 1, v14
	s_and_saveexec_b64 s[0:1], vcc
	s_cbranch_execz .LBB29_114
; %bb.113:
	v_subrev_u32_e32 v14, s16, v28
	v_lshlrev_b32_e32 v14, 2, v14
	ds_write_b32 v14, v15
.LBB29_114:
	s_or_b64 exec, exec, s[0:1]
	v_mov_b32_e32 v14, 1
	v_and_b32_sdwa v14, v14, v8 dst_sel:DWORD dst_unused:UNUSED_PAD src0_sel:DWORD src1_sel:WORD_1
	v_cmp_eq_u32_e32 vcc, 1, v14
	s_and_saveexec_b64 s[0:1], vcc
	s_cbranch_execz .LBB29_116
; %bb.115:
	v_subrev_u32_e32 v14, s16, v26
	v_lshlrev_b32_e32 v14, 2, v14
	ds_write_b32 v14, v12
.LBB29_116:
	s_or_b64 exec, exec, s[0:1]
	v_and_b32_e32 v12, 1, v16
	v_cmp_eq_u32_e32 vcc, 1, v12
	s_and_saveexec_b64 s[0:1], vcc
	s_cbranch_execz .LBB29_118
; %bb.117:
	v_subrev_u32_e32 v12, s16, v24
	v_lshlrev_b32_e32 v12, 2, v12
	ds_write_b32 v12, v13
.LBB29_118:
	s_or_b64 exec, exec, s[0:1]
	v_and_b32_e32 v12, 1, v9
	;; [unrolled: 10-line block ×3, first 2 shown]
	v_cmp_eq_u32_e32 vcc, 1, v10
	s_and_saveexec_b64 s[0:1], vcc
	s_cbranch_execz .LBB29_122
; %bb.121:
	v_subrev_u32_e32 v10, s16, v20
	v_lshlrev_b32_e32 v10, 2, v10
	ds_write_b32 v10, v11
.LBB29_122:
	s_or_b64 exec, exec, s[0:1]
	v_mov_b32_e32 v10, 1
	v_and_b32_sdwa v10, v10, v9 dst_sel:DWORD dst_unused:UNUSED_PAD src0_sel:DWORD src1_sel:WORD_1
	v_cmp_eq_u32_e32 vcc, 1, v10
	s_and_saveexec_b64 s[0:1], vcc
	s_cbranch_execz .LBB29_124
; %bb.123:
	v_subrev_u32_e32 v10, s16, v18
	v_lshlrev_b32_e32 v10, 2, v10
	ds_write_b32 v10, v32
.LBB29_124:
	s_or_b64 exec, exec, s[0:1]
	v_cmp_gt_u32_e32 vcc, s30, v0
	s_waitcnt lgkmcnt(0)
	s_barrier
	s_and_saveexec_b64 s[0:1], vcc
	s_cbranch_execz .LBB29_127
; %bb.125:
	s_lshl_b64 s[8:9], s[22:23], 2
	s_mov_b32 s17, 0
	s_add_u32 s8, s4, s8
	s_addc_u32 s9, s5, s9
	s_lshl_b64 s[4:5], s[16:17], 2
	s_add_u32 s8, s8, s4
	s_addc_u32 s9, s9, s5
	v_lshlrev_b32_e32 v12, 2, v0
	s_mov_b64 s[4:5], 0
	v_mov_b32_e32 v11, 0
	v_mov_b32_e32 v13, s9
	;; [unrolled: 1-line block ×3, first 2 shown]
.LBB29_126:                             ; =>This Inner Loop Header: Depth=1
	ds_read_b32 v19, v12
	v_lshlrev_b64 v[14:15], 2, v[10:11]
	v_add_co_u32_e32 v14, vcc, s8, v14
	v_add_u32_e32 v10, 0xc0, v10
	v_addc_co_u32_e32 v15, vcc, v13, v15, vcc
	v_cmp_le_u32_e32 vcc, s30, v10
	v_add_u32_e32 v12, 0x300, v12
	s_or_b64 s[4:5], vcc, s[4:5]
	s_waitcnt lgkmcnt(0)
	global_store_dword v[14:15], v19, off
	s_andn2_b64 exec, exec, s[4:5]
	s_cbranch_execnz .LBB29_126
.LBB29_127:
	s_or_b64 exec, exec, s[0:1]
.LBB29_128:
	s_mov_b64 s[0:1], -1
	s_and_b64 vcc, exec, s[2:3]
	s_waitcnt lgkmcnt(0)
	s_barrier
	s_cbranch_vccnz .LBB29_132
; %bb.129:
	s_and_b64 vcc, exec, s[0:1]
	s_cbranch_vccnz .LBB29_154
.LBB29_130:
	v_cmp_eq_u32_e32 vcc, 0, v0
	s_and_b64 s[0:1], vcc, s[24:25]
	s_and_saveexec_b64 s[2:3], s[0:1]
	s_cbranch_execnz .LBB29_172
.LBB29_131:
	s_endpgm
.LBB29_132:
	s_add_i32 s4, s16, s30
	s_lshl_b64 s[0:1], s[22:23], 2
	s_add_u32 s2, s6, s0
	v_cmp_gt_u32_e32 vcc, s4, v30
	s_addc_u32 s3, s7, s1
	s_or_b64 s[8:9], s[26:27], vcc
	s_and_saveexec_b64 s[0:1], s[8:9]
	s_cbranch_execz .LBB29_135
; %bb.133:
	v_cmp_eq_u32_e32 vcc, 1, v34
	s_and_b64 exec, exec, vcc
	s_cbranch_execz .LBB29_135
; %bb.134:
	v_mov_b32_e32 v31, 0
	v_lshlrev_b64 v[10:11], 2, v[30:31]
	v_mov_b32_e32 v12, s3
	v_add_co_u32_e32 v10, vcc, s2, v10
	v_addc_co_u32_e32 v11, vcc, v12, v11, vcc
	global_store_dword v[10:11], v6, off
.LBB29_135:
	s_or_b64 exec, exec, s[0:1]
	v_cmp_gt_u32_e32 vcc, s4, v28
	s_or_b64 s[8:9], s[26:27], vcc
	s_and_saveexec_b64 s[0:1], s[8:9]
	s_cbranch_execz .LBB29_138
; %bb.136:
	v_and_b32_e32 v10, 1, v33
	v_cmp_eq_u32_e32 vcc, 1, v10
	s_and_b64 exec, exec, vcc
	s_cbranch_execz .LBB29_138
; %bb.137:
	v_mov_b32_e32 v29, 0
	v_lshlrev_b64 v[10:11], 2, v[28:29]
	v_mov_b32_e32 v12, s3
	v_add_co_u32_e32 v10, vcc, s2, v10
	v_addc_co_u32_e32 v11, vcc, v12, v11, vcc
	global_store_dword v[10:11], v7, off
.LBB29_138:
	s_or_b64 exec, exec, s[0:1]
	v_cmp_gt_u32_e32 vcc, s4, v26
	s_or_b64 s[8:9], s[26:27], vcc
	s_and_saveexec_b64 s[0:1], s[8:9]
	s_cbranch_execz .LBB29_141
; %bb.139:
	v_mov_b32_e32 v10, 1
	v_and_b32_sdwa v10, v10, v8 dst_sel:DWORD dst_unused:UNUSED_PAD src0_sel:DWORD src1_sel:WORD_1
	v_cmp_eq_u32_e32 vcc, 1, v10
	s_and_b64 exec, exec, vcc
	s_cbranch_execz .LBB29_141
; %bb.140:
	v_mov_b32_e32 v27, 0
	v_lshlrev_b64 v[10:11], 2, v[26:27]
	v_mov_b32_e32 v12, s3
	v_add_co_u32_e32 v10, vcc, s2, v10
	v_addc_co_u32_e32 v11, vcc, v12, v11, vcc
	global_store_dword v[10:11], v4, off
.LBB29_141:
	s_or_b64 exec, exec, s[0:1]
	v_cmp_gt_u32_e32 vcc, s4, v24
	s_or_b64 s[8:9], s[26:27], vcc
	s_and_saveexec_b64 s[0:1], s[8:9]
	s_cbranch_execz .LBB29_144
; %bb.142:
	v_and_b32_e32 v10, 1, v16
	v_cmp_eq_u32_e32 vcc, 1, v10
	s_and_b64 exec, exec, vcc
	s_cbranch_execz .LBB29_144
; %bb.143:
	v_mov_b32_e32 v25, 0
	v_lshlrev_b64 v[10:11], 2, v[24:25]
	v_mov_b32_e32 v12, s3
	v_add_co_u32_e32 v10, vcc, s2, v10
	v_addc_co_u32_e32 v11, vcc, v12, v11, vcc
	global_store_dword v[10:11], v5, off
.LBB29_144:
	s_or_b64 exec, exec, s[0:1]
	v_cmp_gt_u32_e32 vcc, s4, v22
	s_or_b64 s[8:9], s[26:27], vcc
	s_and_saveexec_b64 s[0:1], s[8:9]
	s_cbranch_execz .LBB29_147
; %bb.145:
	v_and_b32_e32 v10, 1, v9
	v_cmp_eq_u32_e32 vcc, 1, v10
	s_and_b64 exec, exec, vcc
	s_cbranch_execz .LBB29_147
; %bb.146:
	v_mov_b32_e32 v23, 0
	v_lshlrev_b64 v[10:11], 2, v[22:23]
	v_mov_b32_e32 v12, s3
	v_add_co_u32_e32 v10, vcc, s2, v10
	v_addc_co_u32_e32 v11, vcc, v12, v11, vcc
	global_store_dword v[10:11], v2, off
.LBB29_147:
	;; [unrolled: 18-line block ×3, first 2 shown]
	s_or_b64 exec, exec, s[0:1]
	v_cmp_gt_u32_e32 vcc, s4, v18
	s_or_b64 s[4:5], s[26:27], vcc
	s_and_saveexec_b64 s[0:1], s[4:5]
	s_cbranch_execz .LBB29_153
; %bb.151:
	v_mov_b32_e32 v10, 1
	v_and_b32_sdwa v10, v10, v9 dst_sel:DWORD dst_unused:UNUSED_PAD src0_sel:DWORD src1_sel:WORD_1
	v_cmp_eq_u32_e32 vcc, 1, v10
	s_and_b64 exec, exec, vcc
	s_cbranch_execz .LBB29_153
; %bb.152:
	v_mov_b32_e32 v19, 0
	v_lshlrev_b64 v[10:11], 2, v[18:19]
	v_mov_b32_e32 v12, s3
	v_add_co_u32_e32 v10, vcc, s2, v10
	v_addc_co_u32_e32 v11, vcc, v12, v11, vcc
	global_store_dword v[10:11], v1, off
.LBB29_153:
	s_or_b64 exec, exec, s[0:1]
	s_branch .LBB29_130
.LBB29_154:
	v_cmp_eq_u32_e32 vcc, 1, v34
	s_and_saveexec_b64 s[0:1], vcc
	s_cbranch_execz .LBB29_156
; %bb.155:
	v_subrev_u32_e32 v10, s16, v30
	v_lshlrev_b32_e32 v10, 2, v10
	ds_write_b32 v10, v6
.LBB29_156:
	s_or_b64 exec, exec, s[0:1]
	v_and_b32_e32 v6, 1, v33
	v_cmp_eq_u32_e32 vcc, 1, v6
	s_and_saveexec_b64 s[0:1], vcc
	s_cbranch_execz .LBB29_158
; %bb.157:
	v_subrev_u32_e32 v6, s16, v28
	v_lshlrev_b32_e32 v6, 2, v6
	ds_write_b32 v6, v7
.LBB29_158:
	s_or_b64 exec, exec, s[0:1]
	v_mov_b32_e32 v6, 1
	v_and_b32_sdwa v6, v6, v8 dst_sel:DWORD dst_unused:UNUSED_PAD src0_sel:DWORD src1_sel:WORD_1
	v_cmp_eq_u32_e32 vcc, 1, v6
	s_and_saveexec_b64 s[0:1], vcc
	s_cbranch_execz .LBB29_160
; %bb.159:
	v_subrev_u32_e32 v6, s16, v26
	v_lshlrev_b32_e32 v6, 2, v6
	ds_write_b32 v6, v4
.LBB29_160:
	s_or_b64 exec, exec, s[0:1]
	v_and_b32_e32 v4, 1, v16
	v_cmp_eq_u32_e32 vcc, 1, v4
	s_and_saveexec_b64 s[0:1], vcc
	s_cbranch_execz .LBB29_162
; %bb.161:
	v_subrev_u32_e32 v4, s16, v24
	v_lshlrev_b32_e32 v4, 2, v4
	ds_write_b32 v4, v5
.LBB29_162:
	s_or_b64 exec, exec, s[0:1]
	v_and_b32_e32 v4, 1, v9
	;; [unrolled: 10-line block ×3, first 2 shown]
	v_cmp_eq_u32_e32 vcc, 1, v2
	s_and_saveexec_b64 s[0:1], vcc
	s_cbranch_execz .LBB29_166
; %bb.165:
	v_subrev_u32_e32 v2, s16, v20
	v_lshlrev_b32_e32 v2, 2, v2
	ds_write_b32 v2, v3
.LBB29_166:
	s_or_b64 exec, exec, s[0:1]
	v_mov_b32_e32 v2, 1
	v_and_b32_sdwa v2, v2, v9 dst_sel:DWORD dst_unused:UNUSED_PAD src0_sel:DWORD src1_sel:WORD_1
	v_cmp_eq_u32_e32 vcc, 1, v2
	s_and_saveexec_b64 s[0:1], vcc
	s_cbranch_execz .LBB29_168
; %bb.167:
	v_subrev_u32_e32 v2, s16, v18
	v_lshlrev_b32_e32 v2, 2, v2
	ds_write_b32 v2, v1
.LBB29_168:
	s_or_b64 exec, exec, s[0:1]
	v_cmp_gt_u32_e32 vcc, s30, v0
	s_waitcnt lgkmcnt(0)
	s_barrier
	s_and_saveexec_b64 s[0:1], vcc
	s_cbranch_execz .LBB29_171
; %bb.169:
	s_lshl_b64 s[2:3], s[22:23], 2
	s_mov_b32 s17, 0
	s_add_u32 s4, s6, s2
	s_addc_u32 s5, s7, s3
	s_lshl_b64 s[2:3], s[16:17], 2
	s_add_u32 s4, s4, s2
	s_addc_u32 s5, s5, s3
	v_lshlrev_b32_e32 v1, 2, v0
	s_mov_b64 s[2:3], 0
	v_mov_b32_e32 v3, 0
	v_mov_b32_e32 v4, s5
	;; [unrolled: 1-line block ×3, first 2 shown]
.LBB29_170:                             ; =>This Inner Loop Header: Depth=1
	ds_read_b32 v5, v1
	v_lshlrev_b64 v[6:7], 2, v[2:3]
	v_add_co_u32_e32 v6, vcc, s4, v6
	v_add_u32_e32 v2, 0xc0, v2
	v_addc_co_u32_e32 v7, vcc, v4, v7, vcc
	v_cmp_le_u32_e32 vcc, s30, v2
	v_add_u32_e32 v1, 0x300, v1
	s_or_b64 s[2:3], vcc, s[2:3]
	s_waitcnt lgkmcnt(0)
	global_store_dword v[6:7], v5, off
	s_andn2_b64 exec, exec, s[2:3]
	s_cbranch_execnz .LBB29_170
.LBB29_171:
	s_or_b64 exec, exec, s[0:1]
	v_cmp_eq_u32_e32 vcc, 0, v0
	s_and_b64 s[0:1], vcc, s[24:25]
	s_and_saveexec_b64 s[2:3], s[0:1]
	s_cbranch_execz .LBB29_131
.LBB29_172:
	s_add_u32 s0, s22, s30
	s_addc_u32 s1, s23, 0
	s_add_u32 s0, s0, s16
	s_addc_u32 s1, s1, 0
	v_mov_b32_e32 v2, 0
	v_pk_mov_b32 v[0:1], s[0:1], s[0:1] op_sel:[0,1]
	global_store_dwordx2 v2, v[0:1], s[20:21]
	s_endpgm
.LBB29_173:
	s_or_b64 exec, exec, s[2:3]
	s_and_saveexec_b64 s[2:3], s[18:19]
	s_cbranch_execnz .LBB29_42
	s_branch .LBB29_43
	.section	.rodata,"a",@progbits
	.p2align	6, 0x0
	.amdhsa_kernel _ZN7rocprim17ROCPRIM_400000_NS6detail17trampoline_kernelINS0_14default_configENS1_25partition_config_selectorILNS1_17partition_subalgoE9EiibEEZZNS1_14partition_implILS5_9ELb0ES3_jPKiN6thrust23THRUST_200600_302600_NS17counting_iteratorIiNSB_11use_defaultESD_SD_EEPNS0_10empty_typeENS0_5tupleIJPiSF_EEENSH_IJSI_SG_EEENS0_18inequality_wrapperIN6hipcub16HIPCUB_304000_NS8EqualityEEEPlJSF_EEE10hipError_tPvRmT3_T4_T5_T6_T7_T9_mT8_P12ihipStream_tbDpT10_ENKUlT_T0_E_clISt17integral_constantIbLb1EES19_IbLb0EEEEDaS15_S16_EUlS15_E_NS1_11comp_targetILNS1_3genE4ELNS1_11target_archE910ELNS1_3gpuE8ELNS1_3repE0EEENS1_30default_config_static_selectorELNS0_4arch9wavefront6targetE1EEEvT1_
		.amdhsa_group_segment_fixed_size 5384
		.amdhsa_private_segment_fixed_size 0
		.amdhsa_kernarg_size 112
		.amdhsa_user_sgpr_count 6
		.amdhsa_user_sgpr_private_segment_buffer 1
		.amdhsa_user_sgpr_dispatch_ptr 0
		.amdhsa_user_sgpr_queue_ptr 0
		.amdhsa_user_sgpr_kernarg_segment_ptr 1
		.amdhsa_user_sgpr_dispatch_id 0
		.amdhsa_user_sgpr_flat_scratch_init 0
		.amdhsa_user_sgpr_kernarg_preload_length 0
		.amdhsa_user_sgpr_kernarg_preload_offset 0
		.amdhsa_user_sgpr_private_segment_size 0
		.amdhsa_uses_dynamic_stack 0
		.amdhsa_system_sgpr_private_segment_wavefront_offset 0
		.amdhsa_system_sgpr_workgroup_id_x 1
		.amdhsa_system_sgpr_workgroup_id_y 0
		.amdhsa_system_sgpr_workgroup_id_z 0
		.amdhsa_system_sgpr_workgroup_info 0
		.amdhsa_system_vgpr_workitem_id 0
		.amdhsa_next_free_vgpr 52
		.amdhsa_next_free_sgpr 40
		.amdhsa_accum_offset 52
		.amdhsa_reserve_vcc 1
		.amdhsa_reserve_flat_scratch 0
		.amdhsa_float_round_mode_32 0
		.amdhsa_float_round_mode_16_64 0
		.amdhsa_float_denorm_mode_32 3
		.amdhsa_float_denorm_mode_16_64 3
		.amdhsa_dx10_clamp 1
		.amdhsa_ieee_mode 1
		.amdhsa_fp16_overflow 0
		.amdhsa_tg_split 0
		.amdhsa_exception_fp_ieee_invalid_op 0
		.amdhsa_exception_fp_denorm_src 0
		.amdhsa_exception_fp_ieee_div_zero 0
		.amdhsa_exception_fp_ieee_overflow 0
		.amdhsa_exception_fp_ieee_underflow 0
		.amdhsa_exception_fp_ieee_inexact 0
		.amdhsa_exception_int_div_zero 0
	.end_amdhsa_kernel
	.section	.text._ZN7rocprim17ROCPRIM_400000_NS6detail17trampoline_kernelINS0_14default_configENS1_25partition_config_selectorILNS1_17partition_subalgoE9EiibEEZZNS1_14partition_implILS5_9ELb0ES3_jPKiN6thrust23THRUST_200600_302600_NS17counting_iteratorIiNSB_11use_defaultESD_SD_EEPNS0_10empty_typeENS0_5tupleIJPiSF_EEENSH_IJSI_SG_EEENS0_18inequality_wrapperIN6hipcub16HIPCUB_304000_NS8EqualityEEEPlJSF_EEE10hipError_tPvRmT3_T4_T5_T6_T7_T9_mT8_P12ihipStream_tbDpT10_ENKUlT_T0_E_clISt17integral_constantIbLb1EES19_IbLb0EEEEDaS15_S16_EUlS15_E_NS1_11comp_targetILNS1_3genE4ELNS1_11target_archE910ELNS1_3gpuE8ELNS1_3repE0EEENS1_30default_config_static_selectorELNS0_4arch9wavefront6targetE1EEEvT1_,"axG",@progbits,_ZN7rocprim17ROCPRIM_400000_NS6detail17trampoline_kernelINS0_14default_configENS1_25partition_config_selectorILNS1_17partition_subalgoE9EiibEEZZNS1_14partition_implILS5_9ELb0ES3_jPKiN6thrust23THRUST_200600_302600_NS17counting_iteratorIiNSB_11use_defaultESD_SD_EEPNS0_10empty_typeENS0_5tupleIJPiSF_EEENSH_IJSI_SG_EEENS0_18inequality_wrapperIN6hipcub16HIPCUB_304000_NS8EqualityEEEPlJSF_EEE10hipError_tPvRmT3_T4_T5_T6_T7_T9_mT8_P12ihipStream_tbDpT10_ENKUlT_T0_E_clISt17integral_constantIbLb1EES19_IbLb0EEEEDaS15_S16_EUlS15_E_NS1_11comp_targetILNS1_3genE4ELNS1_11target_archE910ELNS1_3gpuE8ELNS1_3repE0EEENS1_30default_config_static_selectorELNS0_4arch9wavefront6targetE1EEEvT1_,comdat
.Lfunc_end29:
	.size	_ZN7rocprim17ROCPRIM_400000_NS6detail17trampoline_kernelINS0_14default_configENS1_25partition_config_selectorILNS1_17partition_subalgoE9EiibEEZZNS1_14partition_implILS5_9ELb0ES3_jPKiN6thrust23THRUST_200600_302600_NS17counting_iteratorIiNSB_11use_defaultESD_SD_EEPNS0_10empty_typeENS0_5tupleIJPiSF_EEENSH_IJSI_SG_EEENS0_18inequality_wrapperIN6hipcub16HIPCUB_304000_NS8EqualityEEEPlJSF_EEE10hipError_tPvRmT3_T4_T5_T6_T7_T9_mT8_P12ihipStream_tbDpT10_ENKUlT_T0_E_clISt17integral_constantIbLb1EES19_IbLb0EEEEDaS15_S16_EUlS15_E_NS1_11comp_targetILNS1_3genE4ELNS1_11target_archE910ELNS1_3gpuE8ELNS1_3repE0EEENS1_30default_config_static_selectorELNS0_4arch9wavefront6targetE1EEEvT1_, .Lfunc_end29-_ZN7rocprim17ROCPRIM_400000_NS6detail17trampoline_kernelINS0_14default_configENS1_25partition_config_selectorILNS1_17partition_subalgoE9EiibEEZZNS1_14partition_implILS5_9ELb0ES3_jPKiN6thrust23THRUST_200600_302600_NS17counting_iteratorIiNSB_11use_defaultESD_SD_EEPNS0_10empty_typeENS0_5tupleIJPiSF_EEENSH_IJSI_SG_EEENS0_18inequality_wrapperIN6hipcub16HIPCUB_304000_NS8EqualityEEEPlJSF_EEE10hipError_tPvRmT3_T4_T5_T6_T7_T9_mT8_P12ihipStream_tbDpT10_ENKUlT_T0_E_clISt17integral_constantIbLb1EES19_IbLb0EEEEDaS15_S16_EUlS15_E_NS1_11comp_targetILNS1_3genE4ELNS1_11target_archE910ELNS1_3gpuE8ELNS1_3repE0EEENS1_30default_config_static_selectorELNS0_4arch9wavefront6targetE1EEEvT1_
                                        ; -- End function
	.section	.AMDGPU.csdata,"",@progbits
; Kernel info:
; codeLenInByte = 6480
; NumSgprs: 44
; NumVgprs: 52
; NumAgprs: 0
; TotalNumVgprs: 52
; ScratchSize: 0
; MemoryBound: 0
; FloatMode: 240
; IeeeMode: 1
; LDSByteSize: 5384 bytes/workgroup (compile time only)
; SGPRBlocks: 5
; VGPRBlocks: 6
; NumSGPRsForWavesPerEU: 44
; NumVGPRsForWavesPerEU: 52
; AccumOffset: 52
; Occupancy: 8
; WaveLimiterHint : 1
; COMPUTE_PGM_RSRC2:SCRATCH_EN: 0
; COMPUTE_PGM_RSRC2:USER_SGPR: 6
; COMPUTE_PGM_RSRC2:TRAP_HANDLER: 0
; COMPUTE_PGM_RSRC2:TGID_X_EN: 1
; COMPUTE_PGM_RSRC2:TGID_Y_EN: 0
; COMPUTE_PGM_RSRC2:TGID_Z_EN: 0
; COMPUTE_PGM_RSRC2:TIDIG_COMP_CNT: 0
; COMPUTE_PGM_RSRC3_GFX90A:ACCUM_OFFSET: 12
; COMPUTE_PGM_RSRC3_GFX90A:TG_SPLIT: 0
	.section	.text._ZN7rocprim17ROCPRIM_400000_NS6detail17trampoline_kernelINS0_14default_configENS1_25partition_config_selectorILNS1_17partition_subalgoE9EiibEEZZNS1_14partition_implILS5_9ELb0ES3_jPKiN6thrust23THRUST_200600_302600_NS17counting_iteratorIiNSB_11use_defaultESD_SD_EEPNS0_10empty_typeENS0_5tupleIJPiSF_EEENSH_IJSI_SG_EEENS0_18inequality_wrapperIN6hipcub16HIPCUB_304000_NS8EqualityEEEPlJSF_EEE10hipError_tPvRmT3_T4_T5_T6_T7_T9_mT8_P12ihipStream_tbDpT10_ENKUlT_T0_E_clISt17integral_constantIbLb1EES19_IbLb0EEEEDaS15_S16_EUlS15_E_NS1_11comp_targetILNS1_3genE3ELNS1_11target_archE908ELNS1_3gpuE7ELNS1_3repE0EEENS1_30default_config_static_selectorELNS0_4arch9wavefront6targetE1EEEvT1_,"axG",@progbits,_ZN7rocprim17ROCPRIM_400000_NS6detail17trampoline_kernelINS0_14default_configENS1_25partition_config_selectorILNS1_17partition_subalgoE9EiibEEZZNS1_14partition_implILS5_9ELb0ES3_jPKiN6thrust23THRUST_200600_302600_NS17counting_iteratorIiNSB_11use_defaultESD_SD_EEPNS0_10empty_typeENS0_5tupleIJPiSF_EEENSH_IJSI_SG_EEENS0_18inequality_wrapperIN6hipcub16HIPCUB_304000_NS8EqualityEEEPlJSF_EEE10hipError_tPvRmT3_T4_T5_T6_T7_T9_mT8_P12ihipStream_tbDpT10_ENKUlT_T0_E_clISt17integral_constantIbLb1EES19_IbLb0EEEEDaS15_S16_EUlS15_E_NS1_11comp_targetILNS1_3genE3ELNS1_11target_archE908ELNS1_3gpuE7ELNS1_3repE0EEENS1_30default_config_static_selectorELNS0_4arch9wavefront6targetE1EEEvT1_,comdat
	.protected	_ZN7rocprim17ROCPRIM_400000_NS6detail17trampoline_kernelINS0_14default_configENS1_25partition_config_selectorILNS1_17partition_subalgoE9EiibEEZZNS1_14partition_implILS5_9ELb0ES3_jPKiN6thrust23THRUST_200600_302600_NS17counting_iteratorIiNSB_11use_defaultESD_SD_EEPNS0_10empty_typeENS0_5tupleIJPiSF_EEENSH_IJSI_SG_EEENS0_18inequality_wrapperIN6hipcub16HIPCUB_304000_NS8EqualityEEEPlJSF_EEE10hipError_tPvRmT3_T4_T5_T6_T7_T9_mT8_P12ihipStream_tbDpT10_ENKUlT_T0_E_clISt17integral_constantIbLb1EES19_IbLb0EEEEDaS15_S16_EUlS15_E_NS1_11comp_targetILNS1_3genE3ELNS1_11target_archE908ELNS1_3gpuE7ELNS1_3repE0EEENS1_30default_config_static_selectorELNS0_4arch9wavefront6targetE1EEEvT1_ ; -- Begin function _ZN7rocprim17ROCPRIM_400000_NS6detail17trampoline_kernelINS0_14default_configENS1_25partition_config_selectorILNS1_17partition_subalgoE9EiibEEZZNS1_14partition_implILS5_9ELb0ES3_jPKiN6thrust23THRUST_200600_302600_NS17counting_iteratorIiNSB_11use_defaultESD_SD_EEPNS0_10empty_typeENS0_5tupleIJPiSF_EEENSH_IJSI_SG_EEENS0_18inequality_wrapperIN6hipcub16HIPCUB_304000_NS8EqualityEEEPlJSF_EEE10hipError_tPvRmT3_T4_T5_T6_T7_T9_mT8_P12ihipStream_tbDpT10_ENKUlT_T0_E_clISt17integral_constantIbLb1EES19_IbLb0EEEEDaS15_S16_EUlS15_E_NS1_11comp_targetILNS1_3genE3ELNS1_11target_archE908ELNS1_3gpuE7ELNS1_3repE0EEENS1_30default_config_static_selectorELNS0_4arch9wavefront6targetE1EEEvT1_
	.globl	_ZN7rocprim17ROCPRIM_400000_NS6detail17trampoline_kernelINS0_14default_configENS1_25partition_config_selectorILNS1_17partition_subalgoE9EiibEEZZNS1_14partition_implILS5_9ELb0ES3_jPKiN6thrust23THRUST_200600_302600_NS17counting_iteratorIiNSB_11use_defaultESD_SD_EEPNS0_10empty_typeENS0_5tupleIJPiSF_EEENSH_IJSI_SG_EEENS0_18inequality_wrapperIN6hipcub16HIPCUB_304000_NS8EqualityEEEPlJSF_EEE10hipError_tPvRmT3_T4_T5_T6_T7_T9_mT8_P12ihipStream_tbDpT10_ENKUlT_T0_E_clISt17integral_constantIbLb1EES19_IbLb0EEEEDaS15_S16_EUlS15_E_NS1_11comp_targetILNS1_3genE3ELNS1_11target_archE908ELNS1_3gpuE7ELNS1_3repE0EEENS1_30default_config_static_selectorELNS0_4arch9wavefront6targetE1EEEvT1_
	.p2align	8
	.type	_ZN7rocprim17ROCPRIM_400000_NS6detail17trampoline_kernelINS0_14default_configENS1_25partition_config_selectorILNS1_17partition_subalgoE9EiibEEZZNS1_14partition_implILS5_9ELb0ES3_jPKiN6thrust23THRUST_200600_302600_NS17counting_iteratorIiNSB_11use_defaultESD_SD_EEPNS0_10empty_typeENS0_5tupleIJPiSF_EEENSH_IJSI_SG_EEENS0_18inequality_wrapperIN6hipcub16HIPCUB_304000_NS8EqualityEEEPlJSF_EEE10hipError_tPvRmT3_T4_T5_T6_T7_T9_mT8_P12ihipStream_tbDpT10_ENKUlT_T0_E_clISt17integral_constantIbLb1EES19_IbLb0EEEEDaS15_S16_EUlS15_E_NS1_11comp_targetILNS1_3genE3ELNS1_11target_archE908ELNS1_3gpuE7ELNS1_3repE0EEENS1_30default_config_static_selectorELNS0_4arch9wavefront6targetE1EEEvT1_,@function
_ZN7rocprim17ROCPRIM_400000_NS6detail17trampoline_kernelINS0_14default_configENS1_25partition_config_selectorILNS1_17partition_subalgoE9EiibEEZZNS1_14partition_implILS5_9ELb0ES3_jPKiN6thrust23THRUST_200600_302600_NS17counting_iteratorIiNSB_11use_defaultESD_SD_EEPNS0_10empty_typeENS0_5tupleIJPiSF_EEENSH_IJSI_SG_EEENS0_18inequality_wrapperIN6hipcub16HIPCUB_304000_NS8EqualityEEEPlJSF_EEE10hipError_tPvRmT3_T4_T5_T6_T7_T9_mT8_P12ihipStream_tbDpT10_ENKUlT_T0_E_clISt17integral_constantIbLb1EES19_IbLb0EEEEDaS15_S16_EUlS15_E_NS1_11comp_targetILNS1_3genE3ELNS1_11target_archE908ELNS1_3gpuE7ELNS1_3repE0EEENS1_30default_config_static_selectorELNS0_4arch9wavefront6targetE1EEEvT1_: ; @_ZN7rocprim17ROCPRIM_400000_NS6detail17trampoline_kernelINS0_14default_configENS1_25partition_config_selectorILNS1_17partition_subalgoE9EiibEEZZNS1_14partition_implILS5_9ELb0ES3_jPKiN6thrust23THRUST_200600_302600_NS17counting_iteratorIiNSB_11use_defaultESD_SD_EEPNS0_10empty_typeENS0_5tupleIJPiSF_EEENSH_IJSI_SG_EEENS0_18inequality_wrapperIN6hipcub16HIPCUB_304000_NS8EqualityEEEPlJSF_EEE10hipError_tPvRmT3_T4_T5_T6_T7_T9_mT8_P12ihipStream_tbDpT10_ENKUlT_T0_E_clISt17integral_constantIbLb1EES19_IbLb0EEEEDaS15_S16_EUlS15_E_NS1_11comp_targetILNS1_3genE3ELNS1_11target_archE908ELNS1_3gpuE7ELNS1_3repE0EEENS1_30default_config_static_selectorELNS0_4arch9wavefront6targetE1EEEvT1_
; %bb.0:
	.section	.rodata,"a",@progbits
	.p2align	6, 0x0
	.amdhsa_kernel _ZN7rocprim17ROCPRIM_400000_NS6detail17trampoline_kernelINS0_14default_configENS1_25partition_config_selectorILNS1_17partition_subalgoE9EiibEEZZNS1_14partition_implILS5_9ELb0ES3_jPKiN6thrust23THRUST_200600_302600_NS17counting_iteratorIiNSB_11use_defaultESD_SD_EEPNS0_10empty_typeENS0_5tupleIJPiSF_EEENSH_IJSI_SG_EEENS0_18inequality_wrapperIN6hipcub16HIPCUB_304000_NS8EqualityEEEPlJSF_EEE10hipError_tPvRmT3_T4_T5_T6_T7_T9_mT8_P12ihipStream_tbDpT10_ENKUlT_T0_E_clISt17integral_constantIbLb1EES19_IbLb0EEEEDaS15_S16_EUlS15_E_NS1_11comp_targetILNS1_3genE3ELNS1_11target_archE908ELNS1_3gpuE7ELNS1_3repE0EEENS1_30default_config_static_selectorELNS0_4arch9wavefront6targetE1EEEvT1_
		.amdhsa_group_segment_fixed_size 0
		.amdhsa_private_segment_fixed_size 0
		.amdhsa_kernarg_size 112
		.amdhsa_user_sgpr_count 6
		.amdhsa_user_sgpr_private_segment_buffer 1
		.amdhsa_user_sgpr_dispatch_ptr 0
		.amdhsa_user_sgpr_queue_ptr 0
		.amdhsa_user_sgpr_kernarg_segment_ptr 1
		.amdhsa_user_sgpr_dispatch_id 0
		.amdhsa_user_sgpr_flat_scratch_init 0
		.amdhsa_user_sgpr_kernarg_preload_length 0
		.amdhsa_user_sgpr_kernarg_preload_offset 0
		.amdhsa_user_sgpr_private_segment_size 0
		.amdhsa_uses_dynamic_stack 0
		.amdhsa_system_sgpr_private_segment_wavefront_offset 0
		.amdhsa_system_sgpr_workgroup_id_x 1
		.amdhsa_system_sgpr_workgroup_id_y 0
		.amdhsa_system_sgpr_workgroup_id_z 0
		.amdhsa_system_sgpr_workgroup_info 0
		.amdhsa_system_vgpr_workitem_id 0
		.amdhsa_next_free_vgpr 1
		.amdhsa_next_free_sgpr 0
		.amdhsa_accum_offset 4
		.amdhsa_reserve_vcc 0
		.amdhsa_reserve_flat_scratch 0
		.amdhsa_float_round_mode_32 0
		.amdhsa_float_round_mode_16_64 0
		.amdhsa_float_denorm_mode_32 3
		.amdhsa_float_denorm_mode_16_64 3
		.amdhsa_dx10_clamp 1
		.amdhsa_ieee_mode 1
		.amdhsa_fp16_overflow 0
		.amdhsa_tg_split 0
		.amdhsa_exception_fp_ieee_invalid_op 0
		.amdhsa_exception_fp_denorm_src 0
		.amdhsa_exception_fp_ieee_div_zero 0
		.amdhsa_exception_fp_ieee_overflow 0
		.amdhsa_exception_fp_ieee_underflow 0
		.amdhsa_exception_fp_ieee_inexact 0
		.amdhsa_exception_int_div_zero 0
	.end_amdhsa_kernel
	.section	.text._ZN7rocprim17ROCPRIM_400000_NS6detail17trampoline_kernelINS0_14default_configENS1_25partition_config_selectorILNS1_17partition_subalgoE9EiibEEZZNS1_14partition_implILS5_9ELb0ES3_jPKiN6thrust23THRUST_200600_302600_NS17counting_iteratorIiNSB_11use_defaultESD_SD_EEPNS0_10empty_typeENS0_5tupleIJPiSF_EEENSH_IJSI_SG_EEENS0_18inequality_wrapperIN6hipcub16HIPCUB_304000_NS8EqualityEEEPlJSF_EEE10hipError_tPvRmT3_T4_T5_T6_T7_T9_mT8_P12ihipStream_tbDpT10_ENKUlT_T0_E_clISt17integral_constantIbLb1EES19_IbLb0EEEEDaS15_S16_EUlS15_E_NS1_11comp_targetILNS1_3genE3ELNS1_11target_archE908ELNS1_3gpuE7ELNS1_3repE0EEENS1_30default_config_static_selectorELNS0_4arch9wavefront6targetE1EEEvT1_,"axG",@progbits,_ZN7rocprim17ROCPRIM_400000_NS6detail17trampoline_kernelINS0_14default_configENS1_25partition_config_selectorILNS1_17partition_subalgoE9EiibEEZZNS1_14partition_implILS5_9ELb0ES3_jPKiN6thrust23THRUST_200600_302600_NS17counting_iteratorIiNSB_11use_defaultESD_SD_EEPNS0_10empty_typeENS0_5tupleIJPiSF_EEENSH_IJSI_SG_EEENS0_18inequality_wrapperIN6hipcub16HIPCUB_304000_NS8EqualityEEEPlJSF_EEE10hipError_tPvRmT3_T4_T5_T6_T7_T9_mT8_P12ihipStream_tbDpT10_ENKUlT_T0_E_clISt17integral_constantIbLb1EES19_IbLb0EEEEDaS15_S16_EUlS15_E_NS1_11comp_targetILNS1_3genE3ELNS1_11target_archE908ELNS1_3gpuE7ELNS1_3repE0EEENS1_30default_config_static_selectorELNS0_4arch9wavefront6targetE1EEEvT1_,comdat
.Lfunc_end30:
	.size	_ZN7rocprim17ROCPRIM_400000_NS6detail17trampoline_kernelINS0_14default_configENS1_25partition_config_selectorILNS1_17partition_subalgoE9EiibEEZZNS1_14partition_implILS5_9ELb0ES3_jPKiN6thrust23THRUST_200600_302600_NS17counting_iteratorIiNSB_11use_defaultESD_SD_EEPNS0_10empty_typeENS0_5tupleIJPiSF_EEENSH_IJSI_SG_EEENS0_18inequality_wrapperIN6hipcub16HIPCUB_304000_NS8EqualityEEEPlJSF_EEE10hipError_tPvRmT3_T4_T5_T6_T7_T9_mT8_P12ihipStream_tbDpT10_ENKUlT_T0_E_clISt17integral_constantIbLb1EES19_IbLb0EEEEDaS15_S16_EUlS15_E_NS1_11comp_targetILNS1_3genE3ELNS1_11target_archE908ELNS1_3gpuE7ELNS1_3repE0EEENS1_30default_config_static_selectorELNS0_4arch9wavefront6targetE1EEEvT1_, .Lfunc_end30-_ZN7rocprim17ROCPRIM_400000_NS6detail17trampoline_kernelINS0_14default_configENS1_25partition_config_selectorILNS1_17partition_subalgoE9EiibEEZZNS1_14partition_implILS5_9ELb0ES3_jPKiN6thrust23THRUST_200600_302600_NS17counting_iteratorIiNSB_11use_defaultESD_SD_EEPNS0_10empty_typeENS0_5tupleIJPiSF_EEENSH_IJSI_SG_EEENS0_18inequality_wrapperIN6hipcub16HIPCUB_304000_NS8EqualityEEEPlJSF_EEE10hipError_tPvRmT3_T4_T5_T6_T7_T9_mT8_P12ihipStream_tbDpT10_ENKUlT_T0_E_clISt17integral_constantIbLb1EES19_IbLb0EEEEDaS15_S16_EUlS15_E_NS1_11comp_targetILNS1_3genE3ELNS1_11target_archE908ELNS1_3gpuE7ELNS1_3repE0EEENS1_30default_config_static_selectorELNS0_4arch9wavefront6targetE1EEEvT1_
                                        ; -- End function
	.section	.AMDGPU.csdata,"",@progbits
; Kernel info:
; codeLenInByte = 0
; NumSgprs: 4
; NumVgprs: 0
; NumAgprs: 0
; TotalNumVgprs: 0
; ScratchSize: 0
; MemoryBound: 0
; FloatMode: 240
; IeeeMode: 1
; LDSByteSize: 0 bytes/workgroup (compile time only)
; SGPRBlocks: 0
; VGPRBlocks: 0
; NumSGPRsForWavesPerEU: 4
; NumVGPRsForWavesPerEU: 1
; AccumOffset: 4
; Occupancy: 8
; WaveLimiterHint : 0
; COMPUTE_PGM_RSRC2:SCRATCH_EN: 0
; COMPUTE_PGM_RSRC2:USER_SGPR: 6
; COMPUTE_PGM_RSRC2:TRAP_HANDLER: 0
; COMPUTE_PGM_RSRC2:TGID_X_EN: 1
; COMPUTE_PGM_RSRC2:TGID_Y_EN: 0
; COMPUTE_PGM_RSRC2:TGID_Z_EN: 0
; COMPUTE_PGM_RSRC2:TIDIG_COMP_CNT: 0
; COMPUTE_PGM_RSRC3_GFX90A:ACCUM_OFFSET: 0
; COMPUTE_PGM_RSRC3_GFX90A:TG_SPLIT: 0
	.section	.text._ZN7rocprim17ROCPRIM_400000_NS6detail17trampoline_kernelINS0_14default_configENS1_25partition_config_selectorILNS1_17partition_subalgoE9EiibEEZZNS1_14partition_implILS5_9ELb0ES3_jPKiN6thrust23THRUST_200600_302600_NS17counting_iteratorIiNSB_11use_defaultESD_SD_EEPNS0_10empty_typeENS0_5tupleIJPiSF_EEENSH_IJSI_SG_EEENS0_18inequality_wrapperIN6hipcub16HIPCUB_304000_NS8EqualityEEEPlJSF_EEE10hipError_tPvRmT3_T4_T5_T6_T7_T9_mT8_P12ihipStream_tbDpT10_ENKUlT_T0_E_clISt17integral_constantIbLb1EES19_IbLb0EEEEDaS15_S16_EUlS15_E_NS1_11comp_targetILNS1_3genE2ELNS1_11target_archE906ELNS1_3gpuE6ELNS1_3repE0EEENS1_30default_config_static_selectorELNS0_4arch9wavefront6targetE1EEEvT1_,"axG",@progbits,_ZN7rocprim17ROCPRIM_400000_NS6detail17trampoline_kernelINS0_14default_configENS1_25partition_config_selectorILNS1_17partition_subalgoE9EiibEEZZNS1_14partition_implILS5_9ELb0ES3_jPKiN6thrust23THRUST_200600_302600_NS17counting_iteratorIiNSB_11use_defaultESD_SD_EEPNS0_10empty_typeENS0_5tupleIJPiSF_EEENSH_IJSI_SG_EEENS0_18inequality_wrapperIN6hipcub16HIPCUB_304000_NS8EqualityEEEPlJSF_EEE10hipError_tPvRmT3_T4_T5_T6_T7_T9_mT8_P12ihipStream_tbDpT10_ENKUlT_T0_E_clISt17integral_constantIbLb1EES19_IbLb0EEEEDaS15_S16_EUlS15_E_NS1_11comp_targetILNS1_3genE2ELNS1_11target_archE906ELNS1_3gpuE6ELNS1_3repE0EEENS1_30default_config_static_selectorELNS0_4arch9wavefront6targetE1EEEvT1_,comdat
	.protected	_ZN7rocprim17ROCPRIM_400000_NS6detail17trampoline_kernelINS0_14default_configENS1_25partition_config_selectorILNS1_17partition_subalgoE9EiibEEZZNS1_14partition_implILS5_9ELb0ES3_jPKiN6thrust23THRUST_200600_302600_NS17counting_iteratorIiNSB_11use_defaultESD_SD_EEPNS0_10empty_typeENS0_5tupleIJPiSF_EEENSH_IJSI_SG_EEENS0_18inequality_wrapperIN6hipcub16HIPCUB_304000_NS8EqualityEEEPlJSF_EEE10hipError_tPvRmT3_T4_T5_T6_T7_T9_mT8_P12ihipStream_tbDpT10_ENKUlT_T0_E_clISt17integral_constantIbLb1EES19_IbLb0EEEEDaS15_S16_EUlS15_E_NS1_11comp_targetILNS1_3genE2ELNS1_11target_archE906ELNS1_3gpuE6ELNS1_3repE0EEENS1_30default_config_static_selectorELNS0_4arch9wavefront6targetE1EEEvT1_ ; -- Begin function _ZN7rocprim17ROCPRIM_400000_NS6detail17trampoline_kernelINS0_14default_configENS1_25partition_config_selectorILNS1_17partition_subalgoE9EiibEEZZNS1_14partition_implILS5_9ELb0ES3_jPKiN6thrust23THRUST_200600_302600_NS17counting_iteratorIiNSB_11use_defaultESD_SD_EEPNS0_10empty_typeENS0_5tupleIJPiSF_EEENSH_IJSI_SG_EEENS0_18inequality_wrapperIN6hipcub16HIPCUB_304000_NS8EqualityEEEPlJSF_EEE10hipError_tPvRmT3_T4_T5_T6_T7_T9_mT8_P12ihipStream_tbDpT10_ENKUlT_T0_E_clISt17integral_constantIbLb1EES19_IbLb0EEEEDaS15_S16_EUlS15_E_NS1_11comp_targetILNS1_3genE2ELNS1_11target_archE906ELNS1_3gpuE6ELNS1_3repE0EEENS1_30default_config_static_selectorELNS0_4arch9wavefront6targetE1EEEvT1_
	.globl	_ZN7rocprim17ROCPRIM_400000_NS6detail17trampoline_kernelINS0_14default_configENS1_25partition_config_selectorILNS1_17partition_subalgoE9EiibEEZZNS1_14partition_implILS5_9ELb0ES3_jPKiN6thrust23THRUST_200600_302600_NS17counting_iteratorIiNSB_11use_defaultESD_SD_EEPNS0_10empty_typeENS0_5tupleIJPiSF_EEENSH_IJSI_SG_EEENS0_18inequality_wrapperIN6hipcub16HIPCUB_304000_NS8EqualityEEEPlJSF_EEE10hipError_tPvRmT3_T4_T5_T6_T7_T9_mT8_P12ihipStream_tbDpT10_ENKUlT_T0_E_clISt17integral_constantIbLb1EES19_IbLb0EEEEDaS15_S16_EUlS15_E_NS1_11comp_targetILNS1_3genE2ELNS1_11target_archE906ELNS1_3gpuE6ELNS1_3repE0EEENS1_30default_config_static_selectorELNS0_4arch9wavefront6targetE1EEEvT1_
	.p2align	8
	.type	_ZN7rocprim17ROCPRIM_400000_NS6detail17trampoline_kernelINS0_14default_configENS1_25partition_config_selectorILNS1_17partition_subalgoE9EiibEEZZNS1_14partition_implILS5_9ELb0ES3_jPKiN6thrust23THRUST_200600_302600_NS17counting_iteratorIiNSB_11use_defaultESD_SD_EEPNS0_10empty_typeENS0_5tupleIJPiSF_EEENSH_IJSI_SG_EEENS0_18inequality_wrapperIN6hipcub16HIPCUB_304000_NS8EqualityEEEPlJSF_EEE10hipError_tPvRmT3_T4_T5_T6_T7_T9_mT8_P12ihipStream_tbDpT10_ENKUlT_T0_E_clISt17integral_constantIbLb1EES19_IbLb0EEEEDaS15_S16_EUlS15_E_NS1_11comp_targetILNS1_3genE2ELNS1_11target_archE906ELNS1_3gpuE6ELNS1_3repE0EEENS1_30default_config_static_selectorELNS0_4arch9wavefront6targetE1EEEvT1_,@function
_ZN7rocprim17ROCPRIM_400000_NS6detail17trampoline_kernelINS0_14default_configENS1_25partition_config_selectorILNS1_17partition_subalgoE9EiibEEZZNS1_14partition_implILS5_9ELb0ES3_jPKiN6thrust23THRUST_200600_302600_NS17counting_iteratorIiNSB_11use_defaultESD_SD_EEPNS0_10empty_typeENS0_5tupleIJPiSF_EEENSH_IJSI_SG_EEENS0_18inequality_wrapperIN6hipcub16HIPCUB_304000_NS8EqualityEEEPlJSF_EEE10hipError_tPvRmT3_T4_T5_T6_T7_T9_mT8_P12ihipStream_tbDpT10_ENKUlT_T0_E_clISt17integral_constantIbLb1EES19_IbLb0EEEEDaS15_S16_EUlS15_E_NS1_11comp_targetILNS1_3genE2ELNS1_11target_archE906ELNS1_3gpuE6ELNS1_3repE0EEENS1_30default_config_static_selectorELNS0_4arch9wavefront6targetE1EEEvT1_: ; @_ZN7rocprim17ROCPRIM_400000_NS6detail17trampoline_kernelINS0_14default_configENS1_25partition_config_selectorILNS1_17partition_subalgoE9EiibEEZZNS1_14partition_implILS5_9ELb0ES3_jPKiN6thrust23THRUST_200600_302600_NS17counting_iteratorIiNSB_11use_defaultESD_SD_EEPNS0_10empty_typeENS0_5tupleIJPiSF_EEENSH_IJSI_SG_EEENS0_18inequality_wrapperIN6hipcub16HIPCUB_304000_NS8EqualityEEEPlJSF_EEE10hipError_tPvRmT3_T4_T5_T6_T7_T9_mT8_P12ihipStream_tbDpT10_ENKUlT_T0_E_clISt17integral_constantIbLb1EES19_IbLb0EEEEDaS15_S16_EUlS15_E_NS1_11comp_targetILNS1_3genE2ELNS1_11target_archE906ELNS1_3gpuE6ELNS1_3repE0EEENS1_30default_config_static_selectorELNS0_4arch9wavefront6targetE1EEEvT1_
; %bb.0:
	.section	.rodata,"a",@progbits
	.p2align	6, 0x0
	.amdhsa_kernel _ZN7rocprim17ROCPRIM_400000_NS6detail17trampoline_kernelINS0_14default_configENS1_25partition_config_selectorILNS1_17partition_subalgoE9EiibEEZZNS1_14partition_implILS5_9ELb0ES3_jPKiN6thrust23THRUST_200600_302600_NS17counting_iteratorIiNSB_11use_defaultESD_SD_EEPNS0_10empty_typeENS0_5tupleIJPiSF_EEENSH_IJSI_SG_EEENS0_18inequality_wrapperIN6hipcub16HIPCUB_304000_NS8EqualityEEEPlJSF_EEE10hipError_tPvRmT3_T4_T5_T6_T7_T9_mT8_P12ihipStream_tbDpT10_ENKUlT_T0_E_clISt17integral_constantIbLb1EES19_IbLb0EEEEDaS15_S16_EUlS15_E_NS1_11comp_targetILNS1_3genE2ELNS1_11target_archE906ELNS1_3gpuE6ELNS1_3repE0EEENS1_30default_config_static_selectorELNS0_4arch9wavefront6targetE1EEEvT1_
		.amdhsa_group_segment_fixed_size 0
		.amdhsa_private_segment_fixed_size 0
		.amdhsa_kernarg_size 112
		.amdhsa_user_sgpr_count 6
		.amdhsa_user_sgpr_private_segment_buffer 1
		.amdhsa_user_sgpr_dispatch_ptr 0
		.amdhsa_user_sgpr_queue_ptr 0
		.amdhsa_user_sgpr_kernarg_segment_ptr 1
		.amdhsa_user_sgpr_dispatch_id 0
		.amdhsa_user_sgpr_flat_scratch_init 0
		.amdhsa_user_sgpr_kernarg_preload_length 0
		.amdhsa_user_sgpr_kernarg_preload_offset 0
		.amdhsa_user_sgpr_private_segment_size 0
		.amdhsa_uses_dynamic_stack 0
		.amdhsa_system_sgpr_private_segment_wavefront_offset 0
		.amdhsa_system_sgpr_workgroup_id_x 1
		.amdhsa_system_sgpr_workgroup_id_y 0
		.amdhsa_system_sgpr_workgroup_id_z 0
		.amdhsa_system_sgpr_workgroup_info 0
		.amdhsa_system_vgpr_workitem_id 0
		.amdhsa_next_free_vgpr 1
		.amdhsa_next_free_sgpr 0
		.amdhsa_accum_offset 4
		.amdhsa_reserve_vcc 0
		.amdhsa_reserve_flat_scratch 0
		.amdhsa_float_round_mode_32 0
		.amdhsa_float_round_mode_16_64 0
		.amdhsa_float_denorm_mode_32 3
		.amdhsa_float_denorm_mode_16_64 3
		.amdhsa_dx10_clamp 1
		.amdhsa_ieee_mode 1
		.amdhsa_fp16_overflow 0
		.amdhsa_tg_split 0
		.amdhsa_exception_fp_ieee_invalid_op 0
		.amdhsa_exception_fp_denorm_src 0
		.amdhsa_exception_fp_ieee_div_zero 0
		.amdhsa_exception_fp_ieee_overflow 0
		.amdhsa_exception_fp_ieee_underflow 0
		.amdhsa_exception_fp_ieee_inexact 0
		.amdhsa_exception_int_div_zero 0
	.end_amdhsa_kernel
	.section	.text._ZN7rocprim17ROCPRIM_400000_NS6detail17trampoline_kernelINS0_14default_configENS1_25partition_config_selectorILNS1_17partition_subalgoE9EiibEEZZNS1_14partition_implILS5_9ELb0ES3_jPKiN6thrust23THRUST_200600_302600_NS17counting_iteratorIiNSB_11use_defaultESD_SD_EEPNS0_10empty_typeENS0_5tupleIJPiSF_EEENSH_IJSI_SG_EEENS0_18inequality_wrapperIN6hipcub16HIPCUB_304000_NS8EqualityEEEPlJSF_EEE10hipError_tPvRmT3_T4_T5_T6_T7_T9_mT8_P12ihipStream_tbDpT10_ENKUlT_T0_E_clISt17integral_constantIbLb1EES19_IbLb0EEEEDaS15_S16_EUlS15_E_NS1_11comp_targetILNS1_3genE2ELNS1_11target_archE906ELNS1_3gpuE6ELNS1_3repE0EEENS1_30default_config_static_selectorELNS0_4arch9wavefront6targetE1EEEvT1_,"axG",@progbits,_ZN7rocprim17ROCPRIM_400000_NS6detail17trampoline_kernelINS0_14default_configENS1_25partition_config_selectorILNS1_17partition_subalgoE9EiibEEZZNS1_14partition_implILS5_9ELb0ES3_jPKiN6thrust23THRUST_200600_302600_NS17counting_iteratorIiNSB_11use_defaultESD_SD_EEPNS0_10empty_typeENS0_5tupleIJPiSF_EEENSH_IJSI_SG_EEENS0_18inequality_wrapperIN6hipcub16HIPCUB_304000_NS8EqualityEEEPlJSF_EEE10hipError_tPvRmT3_T4_T5_T6_T7_T9_mT8_P12ihipStream_tbDpT10_ENKUlT_T0_E_clISt17integral_constantIbLb1EES19_IbLb0EEEEDaS15_S16_EUlS15_E_NS1_11comp_targetILNS1_3genE2ELNS1_11target_archE906ELNS1_3gpuE6ELNS1_3repE0EEENS1_30default_config_static_selectorELNS0_4arch9wavefront6targetE1EEEvT1_,comdat
.Lfunc_end31:
	.size	_ZN7rocprim17ROCPRIM_400000_NS6detail17trampoline_kernelINS0_14default_configENS1_25partition_config_selectorILNS1_17partition_subalgoE9EiibEEZZNS1_14partition_implILS5_9ELb0ES3_jPKiN6thrust23THRUST_200600_302600_NS17counting_iteratorIiNSB_11use_defaultESD_SD_EEPNS0_10empty_typeENS0_5tupleIJPiSF_EEENSH_IJSI_SG_EEENS0_18inequality_wrapperIN6hipcub16HIPCUB_304000_NS8EqualityEEEPlJSF_EEE10hipError_tPvRmT3_T4_T5_T6_T7_T9_mT8_P12ihipStream_tbDpT10_ENKUlT_T0_E_clISt17integral_constantIbLb1EES19_IbLb0EEEEDaS15_S16_EUlS15_E_NS1_11comp_targetILNS1_3genE2ELNS1_11target_archE906ELNS1_3gpuE6ELNS1_3repE0EEENS1_30default_config_static_selectorELNS0_4arch9wavefront6targetE1EEEvT1_, .Lfunc_end31-_ZN7rocprim17ROCPRIM_400000_NS6detail17trampoline_kernelINS0_14default_configENS1_25partition_config_selectorILNS1_17partition_subalgoE9EiibEEZZNS1_14partition_implILS5_9ELb0ES3_jPKiN6thrust23THRUST_200600_302600_NS17counting_iteratorIiNSB_11use_defaultESD_SD_EEPNS0_10empty_typeENS0_5tupleIJPiSF_EEENSH_IJSI_SG_EEENS0_18inequality_wrapperIN6hipcub16HIPCUB_304000_NS8EqualityEEEPlJSF_EEE10hipError_tPvRmT3_T4_T5_T6_T7_T9_mT8_P12ihipStream_tbDpT10_ENKUlT_T0_E_clISt17integral_constantIbLb1EES19_IbLb0EEEEDaS15_S16_EUlS15_E_NS1_11comp_targetILNS1_3genE2ELNS1_11target_archE906ELNS1_3gpuE6ELNS1_3repE0EEENS1_30default_config_static_selectorELNS0_4arch9wavefront6targetE1EEEvT1_
                                        ; -- End function
	.section	.AMDGPU.csdata,"",@progbits
; Kernel info:
; codeLenInByte = 0
; NumSgprs: 4
; NumVgprs: 0
; NumAgprs: 0
; TotalNumVgprs: 0
; ScratchSize: 0
; MemoryBound: 0
; FloatMode: 240
; IeeeMode: 1
; LDSByteSize: 0 bytes/workgroup (compile time only)
; SGPRBlocks: 0
; VGPRBlocks: 0
; NumSGPRsForWavesPerEU: 4
; NumVGPRsForWavesPerEU: 1
; AccumOffset: 4
; Occupancy: 8
; WaveLimiterHint : 0
; COMPUTE_PGM_RSRC2:SCRATCH_EN: 0
; COMPUTE_PGM_RSRC2:USER_SGPR: 6
; COMPUTE_PGM_RSRC2:TRAP_HANDLER: 0
; COMPUTE_PGM_RSRC2:TGID_X_EN: 1
; COMPUTE_PGM_RSRC2:TGID_Y_EN: 0
; COMPUTE_PGM_RSRC2:TGID_Z_EN: 0
; COMPUTE_PGM_RSRC2:TIDIG_COMP_CNT: 0
; COMPUTE_PGM_RSRC3_GFX90A:ACCUM_OFFSET: 0
; COMPUTE_PGM_RSRC3_GFX90A:TG_SPLIT: 0
	.section	.text._ZN7rocprim17ROCPRIM_400000_NS6detail17trampoline_kernelINS0_14default_configENS1_25partition_config_selectorILNS1_17partition_subalgoE9EiibEEZZNS1_14partition_implILS5_9ELb0ES3_jPKiN6thrust23THRUST_200600_302600_NS17counting_iteratorIiNSB_11use_defaultESD_SD_EEPNS0_10empty_typeENS0_5tupleIJPiSF_EEENSH_IJSI_SG_EEENS0_18inequality_wrapperIN6hipcub16HIPCUB_304000_NS8EqualityEEEPlJSF_EEE10hipError_tPvRmT3_T4_T5_T6_T7_T9_mT8_P12ihipStream_tbDpT10_ENKUlT_T0_E_clISt17integral_constantIbLb1EES19_IbLb0EEEEDaS15_S16_EUlS15_E_NS1_11comp_targetILNS1_3genE10ELNS1_11target_archE1200ELNS1_3gpuE4ELNS1_3repE0EEENS1_30default_config_static_selectorELNS0_4arch9wavefront6targetE1EEEvT1_,"axG",@progbits,_ZN7rocprim17ROCPRIM_400000_NS6detail17trampoline_kernelINS0_14default_configENS1_25partition_config_selectorILNS1_17partition_subalgoE9EiibEEZZNS1_14partition_implILS5_9ELb0ES3_jPKiN6thrust23THRUST_200600_302600_NS17counting_iteratorIiNSB_11use_defaultESD_SD_EEPNS0_10empty_typeENS0_5tupleIJPiSF_EEENSH_IJSI_SG_EEENS0_18inequality_wrapperIN6hipcub16HIPCUB_304000_NS8EqualityEEEPlJSF_EEE10hipError_tPvRmT3_T4_T5_T6_T7_T9_mT8_P12ihipStream_tbDpT10_ENKUlT_T0_E_clISt17integral_constantIbLb1EES19_IbLb0EEEEDaS15_S16_EUlS15_E_NS1_11comp_targetILNS1_3genE10ELNS1_11target_archE1200ELNS1_3gpuE4ELNS1_3repE0EEENS1_30default_config_static_selectorELNS0_4arch9wavefront6targetE1EEEvT1_,comdat
	.protected	_ZN7rocprim17ROCPRIM_400000_NS6detail17trampoline_kernelINS0_14default_configENS1_25partition_config_selectorILNS1_17partition_subalgoE9EiibEEZZNS1_14partition_implILS5_9ELb0ES3_jPKiN6thrust23THRUST_200600_302600_NS17counting_iteratorIiNSB_11use_defaultESD_SD_EEPNS0_10empty_typeENS0_5tupleIJPiSF_EEENSH_IJSI_SG_EEENS0_18inequality_wrapperIN6hipcub16HIPCUB_304000_NS8EqualityEEEPlJSF_EEE10hipError_tPvRmT3_T4_T5_T6_T7_T9_mT8_P12ihipStream_tbDpT10_ENKUlT_T0_E_clISt17integral_constantIbLb1EES19_IbLb0EEEEDaS15_S16_EUlS15_E_NS1_11comp_targetILNS1_3genE10ELNS1_11target_archE1200ELNS1_3gpuE4ELNS1_3repE0EEENS1_30default_config_static_selectorELNS0_4arch9wavefront6targetE1EEEvT1_ ; -- Begin function _ZN7rocprim17ROCPRIM_400000_NS6detail17trampoline_kernelINS0_14default_configENS1_25partition_config_selectorILNS1_17partition_subalgoE9EiibEEZZNS1_14partition_implILS5_9ELb0ES3_jPKiN6thrust23THRUST_200600_302600_NS17counting_iteratorIiNSB_11use_defaultESD_SD_EEPNS0_10empty_typeENS0_5tupleIJPiSF_EEENSH_IJSI_SG_EEENS0_18inequality_wrapperIN6hipcub16HIPCUB_304000_NS8EqualityEEEPlJSF_EEE10hipError_tPvRmT3_T4_T5_T6_T7_T9_mT8_P12ihipStream_tbDpT10_ENKUlT_T0_E_clISt17integral_constantIbLb1EES19_IbLb0EEEEDaS15_S16_EUlS15_E_NS1_11comp_targetILNS1_3genE10ELNS1_11target_archE1200ELNS1_3gpuE4ELNS1_3repE0EEENS1_30default_config_static_selectorELNS0_4arch9wavefront6targetE1EEEvT1_
	.globl	_ZN7rocprim17ROCPRIM_400000_NS6detail17trampoline_kernelINS0_14default_configENS1_25partition_config_selectorILNS1_17partition_subalgoE9EiibEEZZNS1_14partition_implILS5_9ELb0ES3_jPKiN6thrust23THRUST_200600_302600_NS17counting_iteratorIiNSB_11use_defaultESD_SD_EEPNS0_10empty_typeENS0_5tupleIJPiSF_EEENSH_IJSI_SG_EEENS0_18inequality_wrapperIN6hipcub16HIPCUB_304000_NS8EqualityEEEPlJSF_EEE10hipError_tPvRmT3_T4_T5_T6_T7_T9_mT8_P12ihipStream_tbDpT10_ENKUlT_T0_E_clISt17integral_constantIbLb1EES19_IbLb0EEEEDaS15_S16_EUlS15_E_NS1_11comp_targetILNS1_3genE10ELNS1_11target_archE1200ELNS1_3gpuE4ELNS1_3repE0EEENS1_30default_config_static_selectorELNS0_4arch9wavefront6targetE1EEEvT1_
	.p2align	8
	.type	_ZN7rocprim17ROCPRIM_400000_NS6detail17trampoline_kernelINS0_14default_configENS1_25partition_config_selectorILNS1_17partition_subalgoE9EiibEEZZNS1_14partition_implILS5_9ELb0ES3_jPKiN6thrust23THRUST_200600_302600_NS17counting_iteratorIiNSB_11use_defaultESD_SD_EEPNS0_10empty_typeENS0_5tupleIJPiSF_EEENSH_IJSI_SG_EEENS0_18inequality_wrapperIN6hipcub16HIPCUB_304000_NS8EqualityEEEPlJSF_EEE10hipError_tPvRmT3_T4_T5_T6_T7_T9_mT8_P12ihipStream_tbDpT10_ENKUlT_T0_E_clISt17integral_constantIbLb1EES19_IbLb0EEEEDaS15_S16_EUlS15_E_NS1_11comp_targetILNS1_3genE10ELNS1_11target_archE1200ELNS1_3gpuE4ELNS1_3repE0EEENS1_30default_config_static_selectorELNS0_4arch9wavefront6targetE1EEEvT1_,@function
_ZN7rocprim17ROCPRIM_400000_NS6detail17trampoline_kernelINS0_14default_configENS1_25partition_config_selectorILNS1_17partition_subalgoE9EiibEEZZNS1_14partition_implILS5_9ELb0ES3_jPKiN6thrust23THRUST_200600_302600_NS17counting_iteratorIiNSB_11use_defaultESD_SD_EEPNS0_10empty_typeENS0_5tupleIJPiSF_EEENSH_IJSI_SG_EEENS0_18inequality_wrapperIN6hipcub16HIPCUB_304000_NS8EqualityEEEPlJSF_EEE10hipError_tPvRmT3_T4_T5_T6_T7_T9_mT8_P12ihipStream_tbDpT10_ENKUlT_T0_E_clISt17integral_constantIbLb1EES19_IbLb0EEEEDaS15_S16_EUlS15_E_NS1_11comp_targetILNS1_3genE10ELNS1_11target_archE1200ELNS1_3gpuE4ELNS1_3repE0EEENS1_30default_config_static_selectorELNS0_4arch9wavefront6targetE1EEEvT1_: ; @_ZN7rocprim17ROCPRIM_400000_NS6detail17trampoline_kernelINS0_14default_configENS1_25partition_config_selectorILNS1_17partition_subalgoE9EiibEEZZNS1_14partition_implILS5_9ELb0ES3_jPKiN6thrust23THRUST_200600_302600_NS17counting_iteratorIiNSB_11use_defaultESD_SD_EEPNS0_10empty_typeENS0_5tupleIJPiSF_EEENSH_IJSI_SG_EEENS0_18inequality_wrapperIN6hipcub16HIPCUB_304000_NS8EqualityEEEPlJSF_EEE10hipError_tPvRmT3_T4_T5_T6_T7_T9_mT8_P12ihipStream_tbDpT10_ENKUlT_T0_E_clISt17integral_constantIbLb1EES19_IbLb0EEEEDaS15_S16_EUlS15_E_NS1_11comp_targetILNS1_3genE10ELNS1_11target_archE1200ELNS1_3gpuE4ELNS1_3repE0EEENS1_30default_config_static_selectorELNS0_4arch9wavefront6targetE1EEEvT1_
; %bb.0:
	.section	.rodata,"a",@progbits
	.p2align	6, 0x0
	.amdhsa_kernel _ZN7rocprim17ROCPRIM_400000_NS6detail17trampoline_kernelINS0_14default_configENS1_25partition_config_selectorILNS1_17partition_subalgoE9EiibEEZZNS1_14partition_implILS5_9ELb0ES3_jPKiN6thrust23THRUST_200600_302600_NS17counting_iteratorIiNSB_11use_defaultESD_SD_EEPNS0_10empty_typeENS0_5tupleIJPiSF_EEENSH_IJSI_SG_EEENS0_18inequality_wrapperIN6hipcub16HIPCUB_304000_NS8EqualityEEEPlJSF_EEE10hipError_tPvRmT3_T4_T5_T6_T7_T9_mT8_P12ihipStream_tbDpT10_ENKUlT_T0_E_clISt17integral_constantIbLb1EES19_IbLb0EEEEDaS15_S16_EUlS15_E_NS1_11comp_targetILNS1_3genE10ELNS1_11target_archE1200ELNS1_3gpuE4ELNS1_3repE0EEENS1_30default_config_static_selectorELNS0_4arch9wavefront6targetE1EEEvT1_
		.amdhsa_group_segment_fixed_size 0
		.amdhsa_private_segment_fixed_size 0
		.amdhsa_kernarg_size 112
		.amdhsa_user_sgpr_count 6
		.amdhsa_user_sgpr_private_segment_buffer 1
		.amdhsa_user_sgpr_dispatch_ptr 0
		.amdhsa_user_sgpr_queue_ptr 0
		.amdhsa_user_sgpr_kernarg_segment_ptr 1
		.amdhsa_user_sgpr_dispatch_id 0
		.amdhsa_user_sgpr_flat_scratch_init 0
		.amdhsa_user_sgpr_kernarg_preload_length 0
		.amdhsa_user_sgpr_kernarg_preload_offset 0
		.amdhsa_user_sgpr_private_segment_size 0
		.amdhsa_uses_dynamic_stack 0
		.amdhsa_system_sgpr_private_segment_wavefront_offset 0
		.amdhsa_system_sgpr_workgroup_id_x 1
		.amdhsa_system_sgpr_workgroup_id_y 0
		.amdhsa_system_sgpr_workgroup_id_z 0
		.amdhsa_system_sgpr_workgroup_info 0
		.amdhsa_system_vgpr_workitem_id 0
		.amdhsa_next_free_vgpr 1
		.amdhsa_next_free_sgpr 0
		.amdhsa_accum_offset 4
		.amdhsa_reserve_vcc 0
		.amdhsa_reserve_flat_scratch 0
		.amdhsa_float_round_mode_32 0
		.amdhsa_float_round_mode_16_64 0
		.amdhsa_float_denorm_mode_32 3
		.amdhsa_float_denorm_mode_16_64 3
		.amdhsa_dx10_clamp 1
		.amdhsa_ieee_mode 1
		.amdhsa_fp16_overflow 0
		.amdhsa_tg_split 0
		.amdhsa_exception_fp_ieee_invalid_op 0
		.amdhsa_exception_fp_denorm_src 0
		.amdhsa_exception_fp_ieee_div_zero 0
		.amdhsa_exception_fp_ieee_overflow 0
		.amdhsa_exception_fp_ieee_underflow 0
		.amdhsa_exception_fp_ieee_inexact 0
		.amdhsa_exception_int_div_zero 0
	.end_amdhsa_kernel
	.section	.text._ZN7rocprim17ROCPRIM_400000_NS6detail17trampoline_kernelINS0_14default_configENS1_25partition_config_selectorILNS1_17partition_subalgoE9EiibEEZZNS1_14partition_implILS5_9ELb0ES3_jPKiN6thrust23THRUST_200600_302600_NS17counting_iteratorIiNSB_11use_defaultESD_SD_EEPNS0_10empty_typeENS0_5tupleIJPiSF_EEENSH_IJSI_SG_EEENS0_18inequality_wrapperIN6hipcub16HIPCUB_304000_NS8EqualityEEEPlJSF_EEE10hipError_tPvRmT3_T4_T5_T6_T7_T9_mT8_P12ihipStream_tbDpT10_ENKUlT_T0_E_clISt17integral_constantIbLb1EES19_IbLb0EEEEDaS15_S16_EUlS15_E_NS1_11comp_targetILNS1_3genE10ELNS1_11target_archE1200ELNS1_3gpuE4ELNS1_3repE0EEENS1_30default_config_static_selectorELNS0_4arch9wavefront6targetE1EEEvT1_,"axG",@progbits,_ZN7rocprim17ROCPRIM_400000_NS6detail17trampoline_kernelINS0_14default_configENS1_25partition_config_selectorILNS1_17partition_subalgoE9EiibEEZZNS1_14partition_implILS5_9ELb0ES3_jPKiN6thrust23THRUST_200600_302600_NS17counting_iteratorIiNSB_11use_defaultESD_SD_EEPNS0_10empty_typeENS0_5tupleIJPiSF_EEENSH_IJSI_SG_EEENS0_18inequality_wrapperIN6hipcub16HIPCUB_304000_NS8EqualityEEEPlJSF_EEE10hipError_tPvRmT3_T4_T5_T6_T7_T9_mT8_P12ihipStream_tbDpT10_ENKUlT_T0_E_clISt17integral_constantIbLb1EES19_IbLb0EEEEDaS15_S16_EUlS15_E_NS1_11comp_targetILNS1_3genE10ELNS1_11target_archE1200ELNS1_3gpuE4ELNS1_3repE0EEENS1_30default_config_static_selectorELNS0_4arch9wavefront6targetE1EEEvT1_,comdat
.Lfunc_end32:
	.size	_ZN7rocprim17ROCPRIM_400000_NS6detail17trampoline_kernelINS0_14default_configENS1_25partition_config_selectorILNS1_17partition_subalgoE9EiibEEZZNS1_14partition_implILS5_9ELb0ES3_jPKiN6thrust23THRUST_200600_302600_NS17counting_iteratorIiNSB_11use_defaultESD_SD_EEPNS0_10empty_typeENS0_5tupleIJPiSF_EEENSH_IJSI_SG_EEENS0_18inequality_wrapperIN6hipcub16HIPCUB_304000_NS8EqualityEEEPlJSF_EEE10hipError_tPvRmT3_T4_T5_T6_T7_T9_mT8_P12ihipStream_tbDpT10_ENKUlT_T0_E_clISt17integral_constantIbLb1EES19_IbLb0EEEEDaS15_S16_EUlS15_E_NS1_11comp_targetILNS1_3genE10ELNS1_11target_archE1200ELNS1_3gpuE4ELNS1_3repE0EEENS1_30default_config_static_selectorELNS0_4arch9wavefront6targetE1EEEvT1_, .Lfunc_end32-_ZN7rocprim17ROCPRIM_400000_NS6detail17trampoline_kernelINS0_14default_configENS1_25partition_config_selectorILNS1_17partition_subalgoE9EiibEEZZNS1_14partition_implILS5_9ELb0ES3_jPKiN6thrust23THRUST_200600_302600_NS17counting_iteratorIiNSB_11use_defaultESD_SD_EEPNS0_10empty_typeENS0_5tupleIJPiSF_EEENSH_IJSI_SG_EEENS0_18inequality_wrapperIN6hipcub16HIPCUB_304000_NS8EqualityEEEPlJSF_EEE10hipError_tPvRmT3_T4_T5_T6_T7_T9_mT8_P12ihipStream_tbDpT10_ENKUlT_T0_E_clISt17integral_constantIbLb1EES19_IbLb0EEEEDaS15_S16_EUlS15_E_NS1_11comp_targetILNS1_3genE10ELNS1_11target_archE1200ELNS1_3gpuE4ELNS1_3repE0EEENS1_30default_config_static_selectorELNS0_4arch9wavefront6targetE1EEEvT1_
                                        ; -- End function
	.section	.AMDGPU.csdata,"",@progbits
; Kernel info:
; codeLenInByte = 0
; NumSgprs: 4
; NumVgprs: 0
; NumAgprs: 0
; TotalNumVgprs: 0
; ScratchSize: 0
; MemoryBound: 0
; FloatMode: 240
; IeeeMode: 1
; LDSByteSize: 0 bytes/workgroup (compile time only)
; SGPRBlocks: 0
; VGPRBlocks: 0
; NumSGPRsForWavesPerEU: 4
; NumVGPRsForWavesPerEU: 1
; AccumOffset: 4
; Occupancy: 8
; WaveLimiterHint : 0
; COMPUTE_PGM_RSRC2:SCRATCH_EN: 0
; COMPUTE_PGM_RSRC2:USER_SGPR: 6
; COMPUTE_PGM_RSRC2:TRAP_HANDLER: 0
; COMPUTE_PGM_RSRC2:TGID_X_EN: 1
; COMPUTE_PGM_RSRC2:TGID_Y_EN: 0
; COMPUTE_PGM_RSRC2:TGID_Z_EN: 0
; COMPUTE_PGM_RSRC2:TIDIG_COMP_CNT: 0
; COMPUTE_PGM_RSRC3_GFX90A:ACCUM_OFFSET: 0
; COMPUTE_PGM_RSRC3_GFX90A:TG_SPLIT: 0
	.section	.text._ZN7rocprim17ROCPRIM_400000_NS6detail17trampoline_kernelINS0_14default_configENS1_25partition_config_selectorILNS1_17partition_subalgoE9EiibEEZZNS1_14partition_implILS5_9ELb0ES3_jPKiN6thrust23THRUST_200600_302600_NS17counting_iteratorIiNSB_11use_defaultESD_SD_EEPNS0_10empty_typeENS0_5tupleIJPiSF_EEENSH_IJSI_SG_EEENS0_18inequality_wrapperIN6hipcub16HIPCUB_304000_NS8EqualityEEEPlJSF_EEE10hipError_tPvRmT3_T4_T5_T6_T7_T9_mT8_P12ihipStream_tbDpT10_ENKUlT_T0_E_clISt17integral_constantIbLb1EES19_IbLb0EEEEDaS15_S16_EUlS15_E_NS1_11comp_targetILNS1_3genE9ELNS1_11target_archE1100ELNS1_3gpuE3ELNS1_3repE0EEENS1_30default_config_static_selectorELNS0_4arch9wavefront6targetE1EEEvT1_,"axG",@progbits,_ZN7rocprim17ROCPRIM_400000_NS6detail17trampoline_kernelINS0_14default_configENS1_25partition_config_selectorILNS1_17partition_subalgoE9EiibEEZZNS1_14partition_implILS5_9ELb0ES3_jPKiN6thrust23THRUST_200600_302600_NS17counting_iteratorIiNSB_11use_defaultESD_SD_EEPNS0_10empty_typeENS0_5tupleIJPiSF_EEENSH_IJSI_SG_EEENS0_18inequality_wrapperIN6hipcub16HIPCUB_304000_NS8EqualityEEEPlJSF_EEE10hipError_tPvRmT3_T4_T5_T6_T7_T9_mT8_P12ihipStream_tbDpT10_ENKUlT_T0_E_clISt17integral_constantIbLb1EES19_IbLb0EEEEDaS15_S16_EUlS15_E_NS1_11comp_targetILNS1_3genE9ELNS1_11target_archE1100ELNS1_3gpuE3ELNS1_3repE0EEENS1_30default_config_static_selectorELNS0_4arch9wavefront6targetE1EEEvT1_,comdat
	.protected	_ZN7rocprim17ROCPRIM_400000_NS6detail17trampoline_kernelINS0_14default_configENS1_25partition_config_selectorILNS1_17partition_subalgoE9EiibEEZZNS1_14partition_implILS5_9ELb0ES3_jPKiN6thrust23THRUST_200600_302600_NS17counting_iteratorIiNSB_11use_defaultESD_SD_EEPNS0_10empty_typeENS0_5tupleIJPiSF_EEENSH_IJSI_SG_EEENS0_18inequality_wrapperIN6hipcub16HIPCUB_304000_NS8EqualityEEEPlJSF_EEE10hipError_tPvRmT3_T4_T5_T6_T7_T9_mT8_P12ihipStream_tbDpT10_ENKUlT_T0_E_clISt17integral_constantIbLb1EES19_IbLb0EEEEDaS15_S16_EUlS15_E_NS1_11comp_targetILNS1_3genE9ELNS1_11target_archE1100ELNS1_3gpuE3ELNS1_3repE0EEENS1_30default_config_static_selectorELNS0_4arch9wavefront6targetE1EEEvT1_ ; -- Begin function _ZN7rocprim17ROCPRIM_400000_NS6detail17trampoline_kernelINS0_14default_configENS1_25partition_config_selectorILNS1_17partition_subalgoE9EiibEEZZNS1_14partition_implILS5_9ELb0ES3_jPKiN6thrust23THRUST_200600_302600_NS17counting_iteratorIiNSB_11use_defaultESD_SD_EEPNS0_10empty_typeENS0_5tupleIJPiSF_EEENSH_IJSI_SG_EEENS0_18inequality_wrapperIN6hipcub16HIPCUB_304000_NS8EqualityEEEPlJSF_EEE10hipError_tPvRmT3_T4_T5_T6_T7_T9_mT8_P12ihipStream_tbDpT10_ENKUlT_T0_E_clISt17integral_constantIbLb1EES19_IbLb0EEEEDaS15_S16_EUlS15_E_NS1_11comp_targetILNS1_3genE9ELNS1_11target_archE1100ELNS1_3gpuE3ELNS1_3repE0EEENS1_30default_config_static_selectorELNS0_4arch9wavefront6targetE1EEEvT1_
	.globl	_ZN7rocprim17ROCPRIM_400000_NS6detail17trampoline_kernelINS0_14default_configENS1_25partition_config_selectorILNS1_17partition_subalgoE9EiibEEZZNS1_14partition_implILS5_9ELb0ES3_jPKiN6thrust23THRUST_200600_302600_NS17counting_iteratorIiNSB_11use_defaultESD_SD_EEPNS0_10empty_typeENS0_5tupleIJPiSF_EEENSH_IJSI_SG_EEENS0_18inequality_wrapperIN6hipcub16HIPCUB_304000_NS8EqualityEEEPlJSF_EEE10hipError_tPvRmT3_T4_T5_T6_T7_T9_mT8_P12ihipStream_tbDpT10_ENKUlT_T0_E_clISt17integral_constantIbLb1EES19_IbLb0EEEEDaS15_S16_EUlS15_E_NS1_11comp_targetILNS1_3genE9ELNS1_11target_archE1100ELNS1_3gpuE3ELNS1_3repE0EEENS1_30default_config_static_selectorELNS0_4arch9wavefront6targetE1EEEvT1_
	.p2align	8
	.type	_ZN7rocprim17ROCPRIM_400000_NS6detail17trampoline_kernelINS0_14default_configENS1_25partition_config_selectorILNS1_17partition_subalgoE9EiibEEZZNS1_14partition_implILS5_9ELb0ES3_jPKiN6thrust23THRUST_200600_302600_NS17counting_iteratorIiNSB_11use_defaultESD_SD_EEPNS0_10empty_typeENS0_5tupleIJPiSF_EEENSH_IJSI_SG_EEENS0_18inequality_wrapperIN6hipcub16HIPCUB_304000_NS8EqualityEEEPlJSF_EEE10hipError_tPvRmT3_T4_T5_T6_T7_T9_mT8_P12ihipStream_tbDpT10_ENKUlT_T0_E_clISt17integral_constantIbLb1EES19_IbLb0EEEEDaS15_S16_EUlS15_E_NS1_11comp_targetILNS1_3genE9ELNS1_11target_archE1100ELNS1_3gpuE3ELNS1_3repE0EEENS1_30default_config_static_selectorELNS0_4arch9wavefront6targetE1EEEvT1_,@function
_ZN7rocprim17ROCPRIM_400000_NS6detail17trampoline_kernelINS0_14default_configENS1_25partition_config_selectorILNS1_17partition_subalgoE9EiibEEZZNS1_14partition_implILS5_9ELb0ES3_jPKiN6thrust23THRUST_200600_302600_NS17counting_iteratorIiNSB_11use_defaultESD_SD_EEPNS0_10empty_typeENS0_5tupleIJPiSF_EEENSH_IJSI_SG_EEENS0_18inequality_wrapperIN6hipcub16HIPCUB_304000_NS8EqualityEEEPlJSF_EEE10hipError_tPvRmT3_T4_T5_T6_T7_T9_mT8_P12ihipStream_tbDpT10_ENKUlT_T0_E_clISt17integral_constantIbLb1EES19_IbLb0EEEEDaS15_S16_EUlS15_E_NS1_11comp_targetILNS1_3genE9ELNS1_11target_archE1100ELNS1_3gpuE3ELNS1_3repE0EEENS1_30default_config_static_selectorELNS0_4arch9wavefront6targetE1EEEvT1_: ; @_ZN7rocprim17ROCPRIM_400000_NS6detail17trampoline_kernelINS0_14default_configENS1_25partition_config_selectorILNS1_17partition_subalgoE9EiibEEZZNS1_14partition_implILS5_9ELb0ES3_jPKiN6thrust23THRUST_200600_302600_NS17counting_iteratorIiNSB_11use_defaultESD_SD_EEPNS0_10empty_typeENS0_5tupleIJPiSF_EEENSH_IJSI_SG_EEENS0_18inequality_wrapperIN6hipcub16HIPCUB_304000_NS8EqualityEEEPlJSF_EEE10hipError_tPvRmT3_T4_T5_T6_T7_T9_mT8_P12ihipStream_tbDpT10_ENKUlT_T0_E_clISt17integral_constantIbLb1EES19_IbLb0EEEEDaS15_S16_EUlS15_E_NS1_11comp_targetILNS1_3genE9ELNS1_11target_archE1100ELNS1_3gpuE3ELNS1_3repE0EEENS1_30default_config_static_selectorELNS0_4arch9wavefront6targetE1EEEvT1_
; %bb.0:
	.section	.rodata,"a",@progbits
	.p2align	6, 0x0
	.amdhsa_kernel _ZN7rocprim17ROCPRIM_400000_NS6detail17trampoline_kernelINS0_14default_configENS1_25partition_config_selectorILNS1_17partition_subalgoE9EiibEEZZNS1_14partition_implILS5_9ELb0ES3_jPKiN6thrust23THRUST_200600_302600_NS17counting_iteratorIiNSB_11use_defaultESD_SD_EEPNS0_10empty_typeENS0_5tupleIJPiSF_EEENSH_IJSI_SG_EEENS0_18inequality_wrapperIN6hipcub16HIPCUB_304000_NS8EqualityEEEPlJSF_EEE10hipError_tPvRmT3_T4_T5_T6_T7_T9_mT8_P12ihipStream_tbDpT10_ENKUlT_T0_E_clISt17integral_constantIbLb1EES19_IbLb0EEEEDaS15_S16_EUlS15_E_NS1_11comp_targetILNS1_3genE9ELNS1_11target_archE1100ELNS1_3gpuE3ELNS1_3repE0EEENS1_30default_config_static_selectorELNS0_4arch9wavefront6targetE1EEEvT1_
		.amdhsa_group_segment_fixed_size 0
		.amdhsa_private_segment_fixed_size 0
		.amdhsa_kernarg_size 112
		.amdhsa_user_sgpr_count 6
		.amdhsa_user_sgpr_private_segment_buffer 1
		.amdhsa_user_sgpr_dispatch_ptr 0
		.amdhsa_user_sgpr_queue_ptr 0
		.amdhsa_user_sgpr_kernarg_segment_ptr 1
		.amdhsa_user_sgpr_dispatch_id 0
		.amdhsa_user_sgpr_flat_scratch_init 0
		.amdhsa_user_sgpr_kernarg_preload_length 0
		.amdhsa_user_sgpr_kernarg_preload_offset 0
		.amdhsa_user_sgpr_private_segment_size 0
		.amdhsa_uses_dynamic_stack 0
		.amdhsa_system_sgpr_private_segment_wavefront_offset 0
		.amdhsa_system_sgpr_workgroup_id_x 1
		.amdhsa_system_sgpr_workgroup_id_y 0
		.amdhsa_system_sgpr_workgroup_id_z 0
		.amdhsa_system_sgpr_workgroup_info 0
		.amdhsa_system_vgpr_workitem_id 0
		.amdhsa_next_free_vgpr 1
		.amdhsa_next_free_sgpr 0
		.amdhsa_accum_offset 4
		.amdhsa_reserve_vcc 0
		.amdhsa_reserve_flat_scratch 0
		.amdhsa_float_round_mode_32 0
		.amdhsa_float_round_mode_16_64 0
		.amdhsa_float_denorm_mode_32 3
		.amdhsa_float_denorm_mode_16_64 3
		.amdhsa_dx10_clamp 1
		.amdhsa_ieee_mode 1
		.amdhsa_fp16_overflow 0
		.amdhsa_tg_split 0
		.amdhsa_exception_fp_ieee_invalid_op 0
		.amdhsa_exception_fp_denorm_src 0
		.amdhsa_exception_fp_ieee_div_zero 0
		.amdhsa_exception_fp_ieee_overflow 0
		.amdhsa_exception_fp_ieee_underflow 0
		.amdhsa_exception_fp_ieee_inexact 0
		.amdhsa_exception_int_div_zero 0
	.end_amdhsa_kernel
	.section	.text._ZN7rocprim17ROCPRIM_400000_NS6detail17trampoline_kernelINS0_14default_configENS1_25partition_config_selectorILNS1_17partition_subalgoE9EiibEEZZNS1_14partition_implILS5_9ELb0ES3_jPKiN6thrust23THRUST_200600_302600_NS17counting_iteratorIiNSB_11use_defaultESD_SD_EEPNS0_10empty_typeENS0_5tupleIJPiSF_EEENSH_IJSI_SG_EEENS0_18inequality_wrapperIN6hipcub16HIPCUB_304000_NS8EqualityEEEPlJSF_EEE10hipError_tPvRmT3_T4_T5_T6_T7_T9_mT8_P12ihipStream_tbDpT10_ENKUlT_T0_E_clISt17integral_constantIbLb1EES19_IbLb0EEEEDaS15_S16_EUlS15_E_NS1_11comp_targetILNS1_3genE9ELNS1_11target_archE1100ELNS1_3gpuE3ELNS1_3repE0EEENS1_30default_config_static_selectorELNS0_4arch9wavefront6targetE1EEEvT1_,"axG",@progbits,_ZN7rocprim17ROCPRIM_400000_NS6detail17trampoline_kernelINS0_14default_configENS1_25partition_config_selectorILNS1_17partition_subalgoE9EiibEEZZNS1_14partition_implILS5_9ELb0ES3_jPKiN6thrust23THRUST_200600_302600_NS17counting_iteratorIiNSB_11use_defaultESD_SD_EEPNS0_10empty_typeENS0_5tupleIJPiSF_EEENSH_IJSI_SG_EEENS0_18inequality_wrapperIN6hipcub16HIPCUB_304000_NS8EqualityEEEPlJSF_EEE10hipError_tPvRmT3_T4_T5_T6_T7_T9_mT8_P12ihipStream_tbDpT10_ENKUlT_T0_E_clISt17integral_constantIbLb1EES19_IbLb0EEEEDaS15_S16_EUlS15_E_NS1_11comp_targetILNS1_3genE9ELNS1_11target_archE1100ELNS1_3gpuE3ELNS1_3repE0EEENS1_30default_config_static_selectorELNS0_4arch9wavefront6targetE1EEEvT1_,comdat
.Lfunc_end33:
	.size	_ZN7rocprim17ROCPRIM_400000_NS6detail17trampoline_kernelINS0_14default_configENS1_25partition_config_selectorILNS1_17partition_subalgoE9EiibEEZZNS1_14partition_implILS5_9ELb0ES3_jPKiN6thrust23THRUST_200600_302600_NS17counting_iteratorIiNSB_11use_defaultESD_SD_EEPNS0_10empty_typeENS0_5tupleIJPiSF_EEENSH_IJSI_SG_EEENS0_18inequality_wrapperIN6hipcub16HIPCUB_304000_NS8EqualityEEEPlJSF_EEE10hipError_tPvRmT3_T4_T5_T6_T7_T9_mT8_P12ihipStream_tbDpT10_ENKUlT_T0_E_clISt17integral_constantIbLb1EES19_IbLb0EEEEDaS15_S16_EUlS15_E_NS1_11comp_targetILNS1_3genE9ELNS1_11target_archE1100ELNS1_3gpuE3ELNS1_3repE0EEENS1_30default_config_static_selectorELNS0_4arch9wavefront6targetE1EEEvT1_, .Lfunc_end33-_ZN7rocprim17ROCPRIM_400000_NS6detail17trampoline_kernelINS0_14default_configENS1_25partition_config_selectorILNS1_17partition_subalgoE9EiibEEZZNS1_14partition_implILS5_9ELb0ES3_jPKiN6thrust23THRUST_200600_302600_NS17counting_iteratorIiNSB_11use_defaultESD_SD_EEPNS0_10empty_typeENS0_5tupleIJPiSF_EEENSH_IJSI_SG_EEENS0_18inequality_wrapperIN6hipcub16HIPCUB_304000_NS8EqualityEEEPlJSF_EEE10hipError_tPvRmT3_T4_T5_T6_T7_T9_mT8_P12ihipStream_tbDpT10_ENKUlT_T0_E_clISt17integral_constantIbLb1EES19_IbLb0EEEEDaS15_S16_EUlS15_E_NS1_11comp_targetILNS1_3genE9ELNS1_11target_archE1100ELNS1_3gpuE3ELNS1_3repE0EEENS1_30default_config_static_selectorELNS0_4arch9wavefront6targetE1EEEvT1_
                                        ; -- End function
	.section	.AMDGPU.csdata,"",@progbits
; Kernel info:
; codeLenInByte = 0
; NumSgprs: 4
; NumVgprs: 0
; NumAgprs: 0
; TotalNumVgprs: 0
; ScratchSize: 0
; MemoryBound: 0
; FloatMode: 240
; IeeeMode: 1
; LDSByteSize: 0 bytes/workgroup (compile time only)
; SGPRBlocks: 0
; VGPRBlocks: 0
; NumSGPRsForWavesPerEU: 4
; NumVGPRsForWavesPerEU: 1
; AccumOffset: 4
; Occupancy: 8
; WaveLimiterHint : 0
; COMPUTE_PGM_RSRC2:SCRATCH_EN: 0
; COMPUTE_PGM_RSRC2:USER_SGPR: 6
; COMPUTE_PGM_RSRC2:TRAP_HANDLER: 0
; COMPUTE_PGM_RSRC2:TGID_X_EN: 1
; COMPUTE_PGM_RSRC2:TGID_Y_EN: 0
; COMPUTE_PGM_RSRC2:TGID_Z_EN: 0
; COMPUTE_PGM_RSRC2:TIDIG_COMP_CNT: 0
; COMPUTE_PGM_RSRC3_GFX90A:ACCUM_OFFSET: 0
; COMPUTE_PGM_RSRC3_GFX90A:TG_SPLIT: 0
	.section	.text._ZN7rocprim17ROCPRIM_400000_NS6detail17trampoline_kernelINS0_14default_configENS1_25partition_config_selectorILNS1_17partition_subalgoE9EiibEEZZNS1_14partition_implILS5_9ELb0ES3_jPKiN6thrust23THRUST_200600_302600_NS17counting_iteratorIiNSB_11use_defaultESD_SD_EEPNS0_10empty_typeENS0_5tupleIJPiSF_EEENSH_IJSI_SG_EEENS0_18inequality_wrapperIN6hipcub16HIPCUB_304000_NS8EqualityEEEPlJSF_EEE10hipError_tPvRmT3_T4_T5_T6_T7_T9_mT8_P12ihipStream_tbDpT10_ENKUlT_T0_E_clISt17integral_constantIbLb1EES19_IbLb0EEEEDaS15_S16_EUlS15_E_NS1_11comp_targetILNS1_3genE8ELNS1_11target_archE1030ELNS1_3gpuE2ELNS1_3repE0EEENS1_30default_config_static_selectorELNS0_4arch9wavefront6targetE1EEEvT1_,"axG",@progbits,_ZN7rocprim17ROCPRIM_400000_NS6detail17trampoline_kernelINS0_14default_configENS1_25partition_config_selectorILNS1_17partition_subalgoE9EiibEEZZNS1_14partition_implILS5_9ELb0ES3_jPKiN6thrust23THRUST_200600_302600_NS17counting_iteratorIiNSB_11use_defaultESD_SD_EEPNS0_10empty_typeENS0_5tupleIJPiSF_EEENSH_IJSI_SG_EEENS0_18inequality_wrapperIN6hipcub16HIPCUB_304000_NS8EqualityEEEPlJSF_EEE10hipError_tPvRmT3_T4_T5_T6_T7_T9_mT8_P12ihipStream_tbDpT10_ENKUlT_T0_E_clISt17integral_constantIbLb1EES19_IbLb0EEEEDaS15_S16_EUlS15_E_NS1_11comp_targetILNS1_3genE8ELNS1_11target_archE1030ELNS1_3gpuE2ELNS1_3repE0EEENS1_30default_config_static_selectorELNS0_4arch9wavefront6targetE1EEEvT1_,comdat
	.protected	_ZN7rocprim17ROCPRIM_400000_NS6detail17trampoline_kernelINS0_14default_configENS1_25partition_config_selectorILNS1_17partition_subalgoE9EiibEEZZNS1_14partition_implILS5_9ELb0ES3_jPKiN6thrust23THRUST_200600_302600_NS17counting_iteratorIiNSB_11use_defaultESD_SD_EEPNS0_10empty_typeENS0_5tupleIJPiSF_EEENSH_IJSI_SG_EEENS0_18inequality_wrapperIN6hipcub16HIPCUB_304000_NS8EqualityEEEPlJSF_EEE10hipError_tPvRmT3_T4_T5_T6_T7_T9_mT8_P12ihipStream_tbDpT10_ENKUlT_T0_E_clISt17integral_constantIbLb1EES19_IbLb0EEEEDaS15_S16_EUlS15_E_NS1_11comp_targetILNS1_3genE8ELNS1_11target_archE1030ELNS1_3gpuE2ELNS1_3repE0EEENS1_30default_config_static_selectorELNS0_4arch9wavefront6targetE1EEEvT1_ ; -- Begin function _ZN7rocprim17ROCPRIM_400000_NS6detail17trampoline_kernelINS0_14default_configENS1_25partition_config_selectorILNS1_17partition_subalgoE9EiibEEZZNS1_14partition_implILS5_9ELb0ES3_jPKiN6thrust23THRUST_200600_302600_NS17counting_iteratorIiNSB_11use_defaultESD_SD_EEPNS0_10empty_typeENS0_5tupleIJPiSF_EEENSH_IJSI_SG_EEENS0_18inequality_wrapperIN6hipcub16HIPCUB_304000_NS8EqualityEEEPlJSF_EEE10hipError_tPvRmT3_T4_T5_T6_T7_T9_mT8_P12ihipStream_tbDpT10_ENKUlT_T0_E_clISt17integral_constantIbLb1EES19_IbLb0EEEEDaS15_S16_EUlS15_E_NS1_11comp_targetILNS1_3genE8ELNS1_11target_archE1030ELNS1_3gpuE2ELNS1_3repE0EEENS1_30default_config_static_selectorELNS0_4arch9wavefront6targetE1EEEvT1_
	.globl	_ZN7rocprim17ROCPRIM_400000_NS6detail17trampoline_kernelINS0_14default_configENS1_25partition_config_selectorILNS1_17partition_subalgoE9EiibEEZZNS1_14partition_implILS5_9ELb0ES3_jPKiN6thrust23THRUST_200600_302600_NS17counting_iteratorIiNSB_11use_defaultESD_SD_EEPNS0_10empty_typeENS0_5tupleIJPiSF_EEENSH_IJSI_SG_EEENS0_18inequality_wrapperIN6hipcub16HIPCUB_304000_NS8EqualityEEEPlJSF_EEE10hipError_tPvRmT3_T4_T5_T6_T7_T9_mT8_P12ihipStream_tbDpT10_ENKUlT_T0_E_clISt17integral_constantIbLb1EES19_IbLb0EEEEDaS15_S16_EUlS15_E_NS1_11comp_targetILNS1_3genE8ELNS1_11target_archE1030ELNS1_3gpuE2ELNS1_3repE0EEENS1_30default_config_static_selectorELNS0_4arch9wavefront6targetE1EEEvT1_
	.p2align	8
	.type	_ZN7rocprim17ROCPRIM_400000_NS6detail17trampoline_kernelINS0_14default_configENS1_25partition_config_selectorILNS1_17partition_subalgoE9EiibEEZZNS1_14partition_implILS5_9ELb0ES3_jPKiN6thrust23THRUST_200600_302600_NS17counting_iteratorIiNSB_11use_defaultESD_SD_EEPNS0_10empty_typeENS0_5tupleIJPiSF_EEENSH_IJSI_SG_EEENS0_18inequality_wrapperIN6hipcub16HIPCUB_304000_NS8EqualityEEEPlJSF_EEE10hipError_tPvRmT3_T4_T5_T6_T7_T9_mT8_P12ihipStream_tbDpT10_ENKUlT_T0_E_clISt17integral_constantIbLb1EES19_IbLb0EEEEDaS15_S16_EUlS15_E_NS1_11comp_targetILNS1_3genE8ELNS1_11target_archE1030ELNS1_3gpuE2ELNS1_3repE0EEENS1_30default_config_static_selectorELNS0_4arch9wavefront6targetE1EEEvT1_,@function
_ZN7rocprim17ROCPRIM_400000_NS6detail17trampoline_kernelINS0_14default_configENS1_25partition_config_selectorILNS1_17partition_subalgoE9EiibEEZZNS1_14partition_implILS5_9ELb0ES3_jPKiN6thrust23THRUST_200600_302600_NS17counting_iteratorIiNSB_11use_defaultESD_SD_EEPNS0_10empty_typeENS0_5tupleIJPiSF_EEENSH_IJSI_SG_EEENS0_18inequality_wrapperIN6hipcub16HIPCUB_304000_NS8EqualityEEEPlJSF_EEE10hipError_tPvRmT3_T4_T5_T6_T7_T9_mT8_P12ihipStream_tbDpT10_ENKUlT_T0_E_clISt17integral_constantIbLb1EES19_IbLb0EEEEDaS15_S16_EUlS15_E_NS1_11comp_targetILNS1_3genE8ELNS1_11target_archE1030ELNS1_3gpuE2ELNS1_3repE0EEENS1_30default_config_static_selectorELNS0_4arch9wavefront6targetE1EEEvT1_: ; @_ZN7rocprim17ROCPRIM_400000_NS6detail17trampoline_kernelINS0_14default_configENS1_25partition_config_selectorILNS1_17partition_subalgoE9EiibEEZZNS1_14partition_implILS5_9ELb0ES3_jPKiN6thrust23THRUST_200600_302600_NS17counting_iteratorIiNSB_11use_defaultESD_SD_EEPNS0_10empty_typeENS0_5tupleIJPiSF_EEENSH_IJSI_SG_EEENS0_18inequality_wrapperIN6hipcub16HIPCUB_304000_NS8EqualityEEEPlJSF_EEE10hipError_tPvRmT3_T4_T5_T6_T7_T9_mT8_P12ihipStream_tbDpT10_ENKUlT_T0_E_clISt17integral_constantIbLb1EES19_IbLb0EEEEDaS15_S16_EUlS15_E_NS1_11comp_targetILNS1_3genE8ELNS1_11target_archE1030ELNS1_3gpuE2ELNS1_3repE0EEENS1_30default_config_static_selectorELNS0_4arch9wavefront6targetE1EEEvT1_
; %bb.0:
	.section	.rodata,"a",@progbits
	.p2align	6, 0x0
	.amdhsa_kernel _ZN7rocprim17ROCPRIM_400000_NS6detail17trampoline_kernelINS0_14default_configENS1_25partition_config_selectorILNS1_17partition_subalgoE9EiibEEZZNS1_14partition_implILS5_9ELb0ES3_jPKiN6thrust23THRUST_200600_302600_NS17counting_iteratorIiNSB_11use_defaultESD_SD_EEPNS0_10empty_typeENS0_5tupleIJPiSF_EEENSH_IJSI_SG_EEENS0_18inequality_wrapperIN6hipcub16HIPCUB_304000_NS8EqualityEEEPlJSF_EEE10hipError_tPvRmT3_T4_T5_T6_T7_T9_mT8_P12ihipStream_tbDpT10_ENKUlT_T0_E_clISt17integral_constantIbLb1EES19_IbLb0EEEEDaS15_S16_EUlS15_E_NS1_11comp_targetILNS1_3genE8ELNS1_11target_archE1030ELNS1_3gpuE2ELNS1_3repE0EEENS1_30default_config_static_selectorELNS0_4arch9wavefront6targetE1EEEvT1_
		.amdhsa_group_segment_fixed_size 0
		.amdhsa_private_segment_fixed_size 0
		.amdhsa_kernarg_size 112
		.amdhsa_user_sgpr_count 6
		.amdhsa_user_sgpr_private_segment_buffer 1
		.amdhsa_user_sgpr_dispatch_ptr 0
		.amdhsa_user_sgpr_queue_ptr 0
		.amdhsa_user_sgpr_kernarg_segment_ptr 1
		.amdhsa_user_sgpr_dispatch_id 0
		.amdhsa_user_sgpr_flat_scratch_init 0
		.amdhsa_user_sgpr_kernarg_preload_length 0
		.amdhsa_user_sgpr_kernarg_preload_offset 0
		.amdhsa_user_sgpr_private_segment_size 0
		.amdhsa_uses_dynamic_stack 0
		.amdhsa_system_sgpr_private_segment_wavefront_offset 0
		.amdhsa_system_sgpr_workgroup_id_x 1
		.amdhsa_system_sgpr_workgroup_id_y 0
		.amdhsa_system_sgpr_workgroup_id_z 0
		.amdhsa_system_sgpr_workgroup_info 0
		.amdhsa_system_vgpr_workitem_id 0
		.amdhsa_next_free_vgpr 1
		.amdhsa_next_free_sgpr 0
		.amdhsa_accum_offset 4
		.amdhsa_reserve_vcc 0
		.amdhsa_reserve_flat_scratch 0
		.amdhsa_float_round_mode_32 0
		.amdhsa_float_round_mode_16_64 0
		.amdhsa_float_denorm_mode_32 3
		.amdhsa_float_denorm_mode_16_64 3
		.amdhsa_dx10_clamp 1
		.amdhsa_ieee_mode 1
		.amdhsa_fp16_overflow 0
		.amdhsa_tg_split 0
		.amdhsa_exception_fp_ieee_invalid_op 0
		.amdhsa_exception_fp_denorm_src 0
		.amdhsa_exception_fp_ieee_div_zero 0
		.amdhsa_exception_fp_ieee_overflow 0
		.amdhsa_exception_fp_ieee_underflow 0
		.amdhsa_exception_fp_ieee_inexact 0
		.amdhsa_exception_int_div_zero 0
	.end_amdhsa_kernel
	.section	.text._ZN7rocprim17ROCPRIM_400000_NS6detail17trampoline_kernelINS0_14default_configENS1_25partition_config_selectorILNS1_17partition_subalgoE9EiibEEZZNS1_14partition_implILS5_9ELb0ES3_jPKiN6thrust23THRUST_200600_302600_NS17counting_iteratorIiNSB_11use_defaultESD_SD_EEPNS0_10empty_typeENS0_5tupleIJPiSF_EEENSH_IJSI_SG_EEENS0_18inequality_wrapperIN6hipcub16HIPCUB_304000_NS8EqualityEEEPlJSF_EEE10hipError_tPvRmT3_T4_T5_T6_T7_T9_mT8_P12ihipStream_tbDpT10_ENKUlT_T0_E_clISt17integral_constantIbLb1EES19_IbLb0EEEEDaS15_S16_EUlS15_E_NS1_11comp_targetILNS1_3genE8ELNS1_11target_archE1030ELNS1_3gpuE2ELNS1_3repE0EEENS1_30default_config_static_selectorELNS0_4arch9wavefront6targetE1EEEvT1_,"axG",@progbits,_ZN7rocprim17ROCPRIM_400000_NS6detail17trampoline_kernelINS0_14default_configENS1_25partition_config_selectorILNS1_17partition_subalgoE9EiibEEZZNS1_14partition_implILS5_9ELb0ES3_jPKiN6thrust23THRUST_200600_302600_NS17counting_iteratorIiNSB_11use_defaultESD_SD_EEPNS0_10empty_typeENS0_5tupleIJPiSF_EEENSH_IJSI_SG_EEENS0_18inequality_wrapperIN6hipcub16HIPCUB_304000_NS8EqualityEEEPlJSF_EEE10hipError_tPvRmT3_T4_T5_T6_T7_T9_mT8_P12ihipStream_tbDpT10_ENKUlT_T0_E_clISt17integral_constantIbLb1EES19_IbLb0EEEEDaS15_S16_EUlS15_E_NS1_11comp_targetILNS1_3genE8ELNS1_11target_archE1030ELNS1_3gpuE2ELNS1_3repE0EEENS1_30default_config_static_selectorELNS0_4arch9wavefront6targetE1EEEvT1_,comdat
.Lfunc_end34:
	.size	_ZN7rocprim17ROCPRIM_400000_NS6detail17trampoline_kernelINS0_14default_configENS1_25partition_config_selectorILNS1_17partition_subalgoE9EiibEEZZNS1_14partition_implILS5_9ELb0ES3_jPKiN6thrust23THRUST_200600_302600_NS17counting_iteratorIiNSB_11use_defaultESD_SD_EEPNS0_10empty_typeENS0_5tupleIJPiSF_EEENSH_IJSI_SG_EEENS0_18inequality_wrapperIN6hipcub16HIPCUB_304000_NS8EqualityEEEPlJSF_EEE10hipError_tPvRmT3_T4_T5_T6_T7_T9_mT8_P12ihipStream_tbDpT10_ENKUlT_T0_E_clISt17integral_constantIbLb1EES19_IbLb0EEEEDaS15_S16_EUlS15_E_NS1_11comp_targetILNS1_3genE8ELNS1_11target_archE1030ELNS1_3gpuE2ELNS1_3repE0EEENS1_30default_config_static_selectorELNS0_4arch9wavefront6targetE1EEEvT1_, .Lfunc_end34-_ZN7rocprim17ROCPRIM_400000_NS6detail17trampoline_kernelINS0_14default_configENS1_25partition_config_selectorILNS1_17partition_subalgoE9EiibEEZZNS1_14partition_implILS5_9ELb0ES3_jPKiN6thrust23THRUST_200600_302600_NS17counting_iteratorIiNSB_11use_defaultESD_SD_EEPNS0_10empty_typeENS0_5tupleIJPiSF_EEENSH_IJSI_SG_EEENS0_18inequality_wrapperIN6hipcub16HIPCUB_304000_NS8EqualityEEEPlJSF_EEE10hipError_tPvRmT3_T4_T5_T6_T7_T9_mT8_P12ihipStream_tbDpT10_ENKUlT_T0_E_clISt17integral_constantIbLb1EES19_IbLb0EEEEDaS15_S16_EUlS15_E_NS1_11comp_targetILNS1_3genE8ELNS1_11target_archE1030ELNS1_3gpuE2ELNS1_3repE0EEENS1_30default_config_static_selectorELNS0_4arch9wavefront6targetE1EEEvT1_
                                        ; -- End function
	.section	.AMDGPU.csdata,"",@progbits
; Kernel info:
; codeLenInByte = 0
; NumSgprs: 4
; NumVgprs: 0
; NumAgprs: 0
; TotalNumVgprs: 0
; ScratchSize: 0
; MemoryBound: 0
; FloatMode: 240
; IeeeMode: 1
; LDSByteSize: 0 bytes/workgroup (compile time only)
; SGPRBlocks: 0
; VGPRBlocks: 0
; NumSGPRsForWavesPerEU: 4
; NumVGPRsForWavesPerEU: 1
; AccumOffset: 4
; Occupancy: 8
; WaveLimiterHint : 0
; COMPUTE_PGM_RSRC2:SCRATCH_EN: 0
; COMPUTE_PGM_RSRC2:USER_SGPR: 6
; COMPUTE_PGM_RSRC2:TRAP_HANDLER: 0
; COMPUTE_PGM_RSRC2:TGID_X_EN: 1
; COMPUTE_PGM_RSRC2:TGID_Y_EN: 0
; COMPUTE_PGM_RSRC2:TGID_Z_EN: 0
; COMPUTE_PGM_RSRC2:TIDIG_COMP_CNT: 0
; COMPUTE_PGM_RSRC3_GFX90A:ACCUM_OFFSET: 0
; COMPUTE_PGM_RSRC3_GFX90A:TG_SPLIT: 0
	.section	.text._ZN7rocprim17ROCPRIM_400000_NS6detail31init_lookback_scan_state_kernelINS1_19lookback_scan_stateIjLb0ELb1EEENS1_16block_id_wrapperIjLb1EEEEEvT_jT0_jPNS7_10value_typeE,"axG",@progbits,_ZN7rocprim17ROCPRIM_400000_NS6detail31init_lookback_scan_state_kernelINS1_19lookback_scan_stateIjLb0ELb1EEENS1_16block_id_wrapperIjLb1EEEEEvT_jT0_jPNS7_10value_typeE,comdat
	.protected	_ZN7rocprim17ROCPRIM_400000_NS6detail31init_lookback_scan_state_kernelINS1_19lookback_scan_stateIjLb0ELb1EEENS1_16block_id_wrapperIjLb1EEEEEvT_jT0_jPNS7_10value_typeE ; -- Begin function _ZN7rocprim17ROCPRIM_400000_NS6detail31init_lookback_scan_state_kernelINS1_19lookback_scan_stateIjLb0ELb1EEENS1_16block_id_wrapperIjLb1EEEEEvT_jT0_jPNS7_10value_typeE
	.globl	_ZN7rocprim17ROCPRIM_400000_NS6detail31init_lookback_scan_state_kernelINS1_19lookback_scan_stateIjLb0ELb1EEENS1_16block_id_wrapperIjLb1EEEEEvT_jT0_jPNS7_10value_typeE
	.p2align	8
	.type	_ZN7rocprim17ROCPRIM_400000_NS6detail31init_lookback_scan_state_kernelINS1_19lookback_scan_stateIjLb0ELb1EEENS1_16block_id_wrapperIjLb1EEEEEvT_jT0_jPNS7_10value_typeE,@function
_ZN7rocprim17ROCPRIM_400000_NS6detail31init_lookback_scan_state_kernelINS1_19lookback_scan_stateIjLb0ELb1EEENS1_16block_id_wrapperIjLb1EEEEEvT_jT0_jPNS7_10value_typeE: ; @_ZN7rocprim17ROCPRIM_400000_NS6detail31init_lookback_scan_state_kernelINS1_19lookback_scan_stateIjLb0ELb1EEENS1_16block_id_wrapperIjLb1EEEEEvT_jT0_jPNS7_10value_typeE
; %bb.0:
	s_load_dword s7, s[4:5], 0x34
	s_load_dwordx2 s[2:3], s[4:5], 0x20
	s_load_dwordx2 s[0:1], s[4:5], 0x0
	s_load_dword s10, s[4:5], 0x8
	s_waitcnt lgkmcnt(0)
	s_and_b32 s7, s7, 0xffff
	s_mul_i32 s6, s6, s7
	s_cmp_eq_u64 s[2:3], 0
	v_add_u32_e32 v0, s6, v0
	s_cbranch_scc1 .LBB35_6
; %bb.1:
	s_load_dword s8, s[4:5], 0x18
	s_mov_b32 s9, 0
	s_waitcnt lgkmcnt(0)
	s_cmp_lt_u32 s8, s10
	s_cselect_b32 s6, s8, 0
	v_cmp_eq_u32_e32 vcc, s6, v0
	s_and_saveexec_b64 s[6:7], vcc
	s_cbranch_execz .LBB35_5
; %bb.2:
	s_add_i32 s8, s8, 64
	s_lshl_b64 s[8:9], s[8:9], 3
	s_add_u32 s8, s0, s8
	s_addc_u32 s9, s1, s9
	v_mov_b32_e32 v4, 0
	global_load_dwordx2 v[2:3], v4, s[8:9] glc
	s_waitcnt vmcnt(0)
	v_and_b32_e32 v5, 0xff, v3
	v_cmp_ne_u64_e32 vcc, 0, v[4:5]
	s_cbranch_vccnz .LBB35_4
.LBB35_3:                               ; =>This Inner Loop Header: Depth=1
	global_load_dwordx2 v[2:3], v4, s[8:9] glc
	s_waitcnt vmcnt(0)
	v_and_b32_e32 v5, 0xff, v3
	v_cmp_eq_u64_e32 vcc, 0, v[4:5]
	s_cbranch_vccnz .LBB35_3
.LBB35_4:
	v_mov_b32_e32 v1, 0
	global_store_dword v1, v2, s[2:3]
.LBB35_5:
	s_or_b64 exec, exec, s[6:7]
.LBB35_6:
	v_cmp_eq_u32_e32 vcc, 0, v0
	s_and_saveexec_b64 s[2:3], vcc
	s_cbranch_execnz .LBB35_10
; %bb.7:
	s_or_b64 exec, exec, s[2:3]
	v_cmp_gt_u32_e32 vcc, s10, v0
	s_and_saveexec_b64 s[2:3], vcc
	s_cbranch_execnz .LBB35_11
.LBB35_8:
	s_or_b64 exec, exec, s[2:3]
	v_cmp_gt_u32_e32 vcc, 64, v0
	s_and_saveexec_b64 s[2:3], vcc
	s_cbranch_execnz .LBB35_12
.LBB35_9:
	s_endpgm
.LBB35_10:
	s_load_dwordx2 s[4:5], s[4:5], 0x10
	v_mov_b32_e32 v1, 0
	s_waitcnt lgkmcnt(0)
	global_store_dword v1, v1, s[4:5]
	s_or_b64 exec, exec, s[2:3]
	v_cmp_gt_u32_e32 vcc, s10, v0
	s_and_saveexec_b64 s[2:3], vcc
	s_cbranch_execz .LBB35_8
.LBB35_11:
	v_add_u32_e32 v2, 64, v0
	v_mov_b32_e32 v3, 0
	v_lshlrev_b64 v[4:5], 3, v[2:3]
	v_mov_b32_e32 v1, s1
	v_add_co_u32_e32 v4, vcc, s0, v4
	v_addc_co_u32_e32 v5, vcc, v1, v5, vcc
	v_mov_b32_e32 v2, v3
	global_store_dwordx2 v[4:5], v[2:3], off
	s_or_b64 exec, exec, s[2:3]
	v_cmp_gt_u32_e32 vcc, 64, v0
	s_and_saveexec_b64 s[2:3], vcc
	s_cbranch_execz .LBB35_9
.LBB35_12:
	v_mov_b32_e32 v1, 0
	v_lshlrev_b64 v[2:3], 3, v[0:1]
	v_mov_b32_e32 v0, s1
	v_add_co_u32_e32 v2, vcc, s0, v2
	v_addc_co_u32_e32 v3, vcc, v0, v3, vcc
	v_mov_b32_e32 v5, 0xff
	v_mov_b32_e32 v4, v1
	global_store_dwordx2 v[2:3], v[4:5], off
	s_endpgm
	.section	.rodata,"a",@progbits
	.p2align	6, 0x0
	.amdhsa_kernel _ZN7rocprim17ROCPRIM_400000_NS6detail31init_lookback_scan_state_kernelINS1_19lookback_scan_stateIjLb0ELb1EEENS1_16block_id_wrapperIjLb1EEEEEvT_jT0_jPNS7_10value_typeE
		.amdhsa_group_segment_fixed_size 0
		.amdhsa_private_segment_fixed_size 0
		.amdhsa_kernarg_size 296
		.amdhsa_user_sgpr_count 6
		.amdhsa_user_sgpr_private_segment_buffer 1
		.amdhsa_user_sgpr_dispatch_ptr 0
		.amdhsa_user_sgpr_queue_ptr 0
		.amdhsa_user_sgpr_kernarg_segment_ptr 1
		.amdhsa_user_sgpr_dispatch_id 0
		.amdhsa_user_sgpr_flat_scratch_init 0
		.amdhsa_user_sgpr_kernarg_preload_length 0
		.amdhsa_user_sgpr_kernarg_preload_offset 0
		.amdhsa_user_sgpr_private_segment_size 0
		.amdhsa_uses_dynamic_stack 0
		.amdhsa_system_sgpr_private_segment_wavefront_offset 0
		.amdhsa_system_sgpr_workgroup_id_x 1
		.amdhsa_system_sgpr_workgroup_id_y 0
		.amdhsa_system_sgpr_workgroup_id_z 0
		.amdhsa_system_sgpr_workgroup_info 0
		.amdhsa_system_vgpr_workitem_id 0
		.amdhsa_next_free_vgpr 6
		.amdhsa_next_free_sgpr 11
		.amdhsa_accum_offset 8
		.amdhsa_reserve_vcc 1
		.amdhsa_reserve_flat_scratch 0
		.amdhsa_float_round_mode_32 0
		.amdhsa_float_round_mode_16_64 0
		.amdhsa_float_denorm_mode_32 3
		.amdhsa_float_denorm_mode_16_64 3
		.amdhsa_dx10_clamp 1
		.amdhsa_ieee_mode 1
		.amdhsa_fp16_overflow 0
		.amdhsa_tg_split 0
		.amdhsa_exception_fp_ieee_invalid_op 0
		.amdhsa_exception_fp_denorm_src 0
		.amdhsa_exception_fp_ieee_div_zero 0
		.amdhsa_exception_fp_ieee_overflow 0
		.amdhsa_exception_fp_ieee_underflow 0
		.amdhsa_exception_fp_ieee_inexact 0
		.amdhsa_exception_int_div_zero 0
	.end_amdhsa_kernel
	.section	.text._ZN7rocprim17ROCPRIM_400000_NS6detail31init_lookback_scan_state_kernelINS1_19lookback_scan_stateIjLb0ELb1EEENS1_16block_id_wrapperIjLb1EEEEEvT_jT0_jPNS7_10value_typeE,"axG",@progbits,_ZN7rocprim17ROCPRIM_400000_NS6detail31init_lookback_scan_state_kernelINS1_19lookback_scan_stateIjLb0ELb1EEENS1_16block_id_wrapperIjLb1EEEEEvT_jT0_jPNS7_10value_typeE,comdat
.Lfunc_end35:
	.size	_ZN7rocprim17ROCPRIM_400000_NS6detail31init_lookback_scan_state_kernelINS1_19lookback_scan_stateIjLb0ELb1EEENS1_16block_id_wrapperIjLb1EEEEEvT_jT0_jPNS7_10value_typeE, .Lfunc_end35-_ZN7rocprim17ROCPRIM_400000_NS6detail31init_lookback_scan_state_kernelINS1_19lookback_scan_stateIjLb0ELb1EEENS1_16block_id_wrapperIjLb1EEEEEvT_jT0_jPNS7_10value_typeE
                                        ; -- End function
	.section	.AMDGPU.csdata,"",@progbits
; Kernel info:
; codeLenInByte = 380
; NumSgprs: 15
; NumVgprs: 6
; NumAgprs: 0
; TotalNumVgprs: 6
; ScratchSize: 0
; MemoryBound: 0
; FloatMode: 240
; IeeeMode: 1
; LDSByteSize: 0 bytes/workgroup (compile time only)
; SGPRBlocks: 1
; VGPRBlocks: 0
; NumSGPRsForWavesPerEU: 15
; NumVGPRsForWavesPerEU: 6
; AccumOffset: 8
; Occupancy: 8
; WaveLimiterHint : 0
; COMPUTE_PGM_RSRC2:SCRATCH_EN: 0
; COMPUTE_PGM_RSRC2:USER_SGPR: 6
; COMPUTE_PGM_RSRC2:TRAP_HANDLER: 0
; COMPUTE_PGM_RSRC2:TGID_X_EN: 1
; COMPUTE_PGM_RSRC2:TGID_Y_EN: 0
; COMPUTE_PGM_RSRC2:TGID_Z_EN: 0
; COMPUTE_PGM_RSRC2:TIDIG_COMP_CNT: 0
; COMPUTE_PGM_RSRC3_GFX90A:ACCUM_OFFSET: 1
; COMPUTE_PGM_RSRC3_GFX90A:TG_SPLIT: 0
	.section	.text._ZN7rocprim17ROCPRIM_400000_NS6detail17trampoline_kernelINS0_14default_configENS1_25partition_config_selectorILNS1_17partition_subalgoE9EiibEEZZNS1_14partition_implILS5_9ELb0ES3_jPKiN6thrust23THRUST_200600_302600_NS17counting_iteratorIiNSB_11use_defaultESD_SD_EEPNS0_10empty_typeENS0_5tupleIJPiSF_EEENSH_IJSI_SG_EEENS0_18inequality_wrapperIN6hipcub16HIPCUB_304000_NS8EqualityEEEPlJSF_EEE10hipError_tPvRmT3_T4_T5_T6_T7_T9_mT8_P12ihipStream_tbDpT10_ENKUlT_T0_E_clISt17integral_constantIbLb0EES19_IbLb1EEEEDaS15_S16_EUlS15_E_NS1_11comp_targetILNS1_3genE0ELNS1_11target_archE4294967295ELNS1_3gpuE0ELNS1_3repE0EEENS1_30default_config_static_selectorELNS0_4arch9wavefront6targetE1EEEvT1_,"axG",@progbits,_ZN7rocprim17ROCPRIM_400000_NS6detail17trampoline_kernelINS0_14default_configENS1_25partition_config_selectorILNS1_17partition_subalgoE9EiibEEZZNS1_14partition_implILS5_9ELb0ES3_jPKiN6thrust23THRUST_200600_302600_NS17counting_iteratorIiNSB_11use_defaultESD_SD_EEPNS0_10empty_typeENS0_5tupleIJPiSF_EEENSH_IJSI_SG_EEENS0_18inequality_wrapperIN6hipcub16HIPCUB_304000_NS8EqualityEEEPlJSF_EEE10hipError_tPvRmT3_T4_T5_T6_T7_T9_mT8_P12ihipStream_tbDpT10_ENKUlT_T0_E_clISt17integral_constantIbLb0EES19_IbLb1EEEEDaS15_S16_EUlS15_E_NS1_11comp_targetILNS1_3genE0ELNS1_11target_archE4294967295ELNS1_3gpuE0ELNS1_3repE0EEENS1_30default_config_static_selectorELNS0_4arch9wavefront6targetE1EEEvT1_,comdat
	.protected	_ZN7rocprim17ROCPRIM_400000_NS6detail17trampoline_kernelINS0_14default_configENS1_25partition_config_selectorILNS1_17partition_subalgoE9EiibEEZZNS1_14partition_implILS5_9ELb0ES3_jPKiN6thrust23THRUST_200600_302600_NS17counting_iteratorIiNSB_11use_defaultESD_SD_EEPNS0_10empty_typeENS0_5tupleIJPiSF_EEENSH_IJSI_SG_EEENS0_18inequality_wrapperIN6hipcub16HIPCUB_304000_NS8EqualityEEEPlJSF_EEE10hipError_tPvRmT3_T4_T5_T6_T7_T9_mT8_P12ihipStream_tbDpT10_ENKUlT_T0_E_clISt17integral_constantIbLb0EES19_IbLb1EEEEDaS15_S16_EUlS15_E_NS1_11comp_targetILNS1_3genE0ELNS1_11target_archE4294967295ELNS1_3gpuE0ELNS1_3repE0EEENS1_30default_config_static_selectorELNS0_4arch9wavefront6targetE1EEEvT1_ ; -- Begin function _ZN7rocprim17ROCPRIM_400000_NS6detail17trampoline_kernelINS0_14default_configENS1_25partition_config_selectorILNS1_17partition_subalgoE9EiibEEZZNS1_14partition_implILS5_9ELb0ES3_jPKiN6thrust23THRUST_200600_302600_NS17counting_iteratorIiNSB_11use_defaultESD_SD_EEPNS0_10empty_typeENS0_5tupleIJPiSF_EEENSH_IJSI_SG_EEENS0_18inequality_wrapperIN6hipcub16HIPCUB_304000_NS8EqualityEEEPlJSF_EEE10hipError_tPvRmT3_T4_T5_T6_T7_T9_mT8_P12ihipStream_tbDpT10_ENKUlT_T0_E_clISt17integral_constantIbLb0EES19_IbLb1EEEEDaS15_S16_EUlS15_E_NS1_11comp_targetILNS1_3genE0ELNS1_11target_archE4294967295ELNS1_3gpuE0ELNS1_3repE0EEENS1_30default_config_static_selectorELNS0_4arch9wavefront6targetE1EEEvT1_
	.globl	_ZN7rocprim17ROCPRIM_400000_NS6detail17trampoline_kernelINS0_14default_configENS1_25partition_config_selectorILNS1_17partition_subalgoE9EiibEEZZNS1_14partition_implILS5_9ELb0ES3_jPKiN6thrust23THRUST_200600_302600_NS17counting_iteratorIiNSB_11use_defaultESD_SD_EEPNS0_10empty_typeENS0_5tupleIJPiSF_EEENSH_IJSI_SG_EEENS0_18inequality_wrapperIN6hipcub16HIPCUB_304000_NS8EqualityEEEPlJSF_EEE10hipError_tPvRmT3_T4_T5_T6_T7_T9_mT8_P12ihipStream_tbDpT10_ENKUlT_T0_E_clISt17integral_constantIbLb0EES19_IbLb1EEEEDaS15_S16_EUlS15_E_NS1_11comp_targetILNS1_3genE0ELNS1_11target_archE4294967295ELNS1_3gpuE0ELNS1_3repE0EEENS1_30default_config_static_selectorELNS0_4arch9wavefront6targetE1EEEvT1_
	.p2align	8
	.type	_ZN7rocprim17ROCPRIM_400000_NS6detail17trampoline_kernelINS0_14default_configENS1_25partition_config_selectorILNS1_17partition_subalgoE9EiibEEZZNS1_14partition_implILS5_9ELb0ES3_jPKiN6thrust23THRUST_200600_302600_NS17counting_iteratorIiNSB_11use_defaultESD_SD_EEPNS0_10empty_typeENS0_5tupleIJPiSF_EEENSH_IJSI_SG_EEENS0_18inequality_wrapperIN6hipcub16HIPCUB_304000_NS8EqualityEEEPlJSF_EEE10hipError_tPvRmT3_T4_T5_T6_T7_T9_mT8_P12ihipStream_tbDpT10_ENKUlT_T0_E_clISt17integral_constantIbLb0EES19_IbLb1EEEEDaS15_S16_EUlS15_E_NS1_11comp_targetILNS1_3genE0ELNS1_11target_archE4294967295ELNS1_3gpuE0ELNS1_3repE0EEENS1_30default_config_static_selectorELNS0_4arch9wavefront6targetE1EEEvT1_,@function
_ZN7rocprim17ROCPRIM_400000_NS6detail17trampoline_kernelINS0_14default_configENS1_25partition_config_selectorILNS1_17partition_subalgoE9EiibEEZZNS1_14partition_implILS5_9ELb0ES3_jPKiN6thrust23THRUST_200600_302600_NS17counting_iteratorIiNSB_11use_defaultESD_SD_EEPNS0_10empty_typeENS0_5tupleIJPiSF_EEENSH_IJSI_SG_EEENS0_18inequality_wrapperIN6hipcub16HIPCUB_304000_NS8EqualityEEEPlJSF_EEE10hipError_tPvRmT3_T4_T5_T6_T7_T9_mT8_P12ihipStream_tbDpT10_ENKUlT_T0_E_clISt17integral_constantIbLb0EES19_IbLb1EEEEDaS15_S16_EUlS15_E_NS1_11comp_targetILNS1_3genE0ELNS1_11target_archE4294967295ELNS1_3gpuE0ELNS1_3repE0EEENS1_30default_config_static_selectorELNS0_4arch9wavefront6targetE1EEEvT1_: ; @_ZN7rocprim17ROCPRIM_400000_NS6detail17trampoline_kernelINS0_14default_configENS1_25partition_config_selectorILNS1_17partition_subalgoE9EiibEEZZNS1_14partition_implILS5_9ELb0ES3_jPKiN6thrust23THRUST_200600_302600_NS17counting_iteratorIiNSB_11use_defaultESD_SD_EEPNS0_10empty_typeENS0_5tupleIJPiSF_EEENSH_IJSI_SG_EEENS0_18inequality_wrapperIN6hipcub16HIPCUB_304000_NS8EqualityEEEPlJSF_EEE10hipError_tPvRmT3_T4_T5_T6_T7_T9_mT8_P12ihipStream_tbDpT10_ENKUlT_T0_E_clISt17integral_constantIbLb0EES19_IbLb1EEEEDaS15_S16_EUlS15_E_NS1_11comp_targetILNS1_3genE0ELNS1_11target_archE4294967295ELNS1_3gpuE0ELNS1_3repE0EEENS1_30default_config_static_selectorELNS0_4arch9wavefront6targetE1EEEvT1_
; %bb.0:
	.section	.rodata,"a",@progbits
	.p2align	6, 0x0
	.amdhsa_kernel _ZN7rocprim17ROCPRIM_400000_NS6detail17trampoline_kernelINS0_14default_configENS1_25partition_config_selectorILNS1_17partition_subalgoE9EiibEEZZNS1_14partition_implILS5_9ELb0ES3_jPKiN6thrust23THRUST_200600_302600_NS17counting_iteratorIiNSB_11use_defaultESD_SD_EEPNS0_10empty_typeENS0_5tupleIJPiSF_EEENSH_IJSI_SG_EEENS0_18inequality_wrapperIN6hipcub16HIPCUB_304000_NS8EqualityEEEPlJSF_EEE10hipError_tPvRmT3_T4_T5_T6_T7_T9_mT8_P12ihipStream_tbDpT10_ENKUlT_T0_E_clISt17integral_constantIbLb0EES19_IbLb1EEEEDaS15_S16_EUlS15_E_NS1_11comp_targetILNS1_3genE0ELNS1_11target_archE4294967295ELNS1_3gpuE0ELNS1_3repE0EEENS1_30default_config_static_selectorELNS0_4arch9wavefront6targetE1EEEvT1_
		.amdhsa_group_segment_fixed_size 0
		.amdhsa_private_segment_fixed_size 0
		.amdhsa_kernarg_size 128
		.amdhsa_user_sgpr_count 6
		.amdhsa_user_sgpr_private_segment_buffer 1
		.amdhsa_user_sgpr_dispatch_ptr 0
		.amdhsa_user_sgpr_queue_ptr 0
		.amdhsa_user_sgpr_kernarg_segment_ptr 1
		.amdhsa_user_sgpr_dispatch_id 0
		.amdhsa_user_sgpr_flat_scratch_init 0
		.amdhsa_user_sgpr_kernarg_preload_length 0
		.amdhsa_user_sgpr_kernarg_preload_offset 0
		.amdhsa_user_sgpr_private_segment_size 0
		.amdhsa_uses_dynamic_stack 0
		.amdhsa_system_sgpr_private_segment_wavefront_offset 0
		.amdhsa_system_sgpr_workgroup_id_x 1
		.amdhsa_system_sgpr_workgroup_id_y 0
		.amdhsa_system_sgpr_workgroup_id_z 0
		.amdhsa_system_sgpr_workgroup_info 0
		.amdhsa_system_vgpr_workitem_id 0
		.amdhsa_next_free_vgpr 1
		.amdhsa_next_free_sgpr 0
		.amdhsa_accum_offset 4
		.amdhsa_reserve_vcc 0
		.amdhsa_reserve_flat_scratch 0
		.amdhsa_float_round_mode_32 0
		.amdhsa_float_round_mode_16_64 0
		.amdhsa_float_denorm_mode_32 3
		.amdhsa_float_denorm_mode_16_64 3
		.amdhsa_dx10_clamp 1
		.amdhsa_ieee_mode 1
		.amdhsa_fp16_overflow 0
		.amdhsa_tg_split 0
		.amdhsa_exception_fp_ieee_invalid_op 0
		.amdhsa_exception_fp_denorm_src 0
		.amdhsa_exception_fp_ieee_div_zero 0
		.amdhsa_exception_fp_ieee_overflow 0
		.amdhsa_exception_fp_ieee_underflow 0
		.amdhsa_exception_fp_ieee_inexact 0
		.amdhsa_exception_int_div_zero 0
	.end_amdhsa_kernel
	.section	.text._ZN7rocprim17ROCPRIM_400000_NS6detail17trampoline_kernelINS0_14default_configENS1_25partition_config_selectorILNS1_17partition_subalgoE9EiibEEZZNS1_14partition_implILS5_9ELb0ES3_jPKiN6thrust23THRUST_200600_302600_NS17counting_iteratorIiNSB_11use_defaultESD_SD_EEPNS0_10empty_typeENS0_5tupleIJPiSF_EEENSH_IJSI_SG_EEENS0_18inequality_wrapperIN6hipcub16HIPCUB_304000_NS8EqualityEEEPlJSF_EEE10hipError_tPvRmT3_T4_T5_T6_T7_T9_mT8_P12ihipStream_tbDpT10_ENKUlT_T0_E_clISt17integral_constantIbLb0EES19_IbLb1EEEEDaS15_S16_EUlS15_E_NS1_11comp_targetILNS1_3genE0ELNS1_11target_archE4294967295ELNS1_3gpuE0ELNS1_3repE0EEENS1_30default_config_static_selectorELNS0_4arch9wavefront6targetE1EEEvT1_,"axG",@progbits,_ZN7rocprim17ROCPRIM_400000_NS6detail17trampoline_kernelINS0_14default_configENS1_25partition_config_selectorILNS1_17partition_subalgoE9EiibEEZZNS1_14partition_implILS5_9ELb0ES3_jPKiN6thrust23THRUST_200600_302600_NS17counting_iteratorIiNSB_11use_defaultESD_SD_EEPNS0_10empty_typeENS0_5tupleIJPiSF_EEENSH_IJSI_SG_EEENS0_18inequality_wrapperIN6hipcub16HIPCUB_304000_NS8EqualityEEEPlJSF_EEE10hipError_tPvRmT3_T4_T5_T6_T7_T9_mT8_P12ihipStream_tbDpT10_ENKUlT_T0_E_clISt17integral_constantIbLb0EES19_IbLb1EEEEDaS15_S16_EUlS15_E_NS1_11comp_targetILNS1_3genE0ELNS1_11target_archE4294967295ELNS1_3gpuE0ELNS1_3repE0EEENS1_30default_config_static_selectorELNS0_4arch9wavefront6targetE1EEEvT1_,comdat
.Lfunc_end36:
	.size	_ZN7rocprim17ROCPRIM_400000_NS6detail17trampoline_kernelINS0_14default_configENS1_25partition_config_selectorILNS1_17partition_subalgoE9EiibEEZZNS1_14partition_implILS5_9ELb0ES3_jPKiN6thrust23THRUST_200600_302600_NS17counting_iteratorIiNSB_11use_defaultESD_SD_EEPNS0_10empty_typeENS0_5tupleIJPiSF_EEENSH_IJSI_SG_EEENS0_18inequality_wrapperIN6hipcub16HIPCUB_304000_NS8EqualityEEEPlJSF_EEE10hipError_tPvRmT3_T4_T5_T6_T7_T9_mT8_P12ihipStream_tbDpT10_ENKUlT_T0_E_clISt17integral_constantIbLb0EES19_IbLb1EEEEDaS15_S16_EUlS15_E_NS1_11comp_targetILNS1_3genE0ELNS1_11target_archE4294967295ELNS1_3gpuE0ELNS1_3repE0EEENS1_30default_config_static_selectorELNS0_4arch9wavefront6targetE1EEEvT1_, .Lfunc_end36-_ZN7rocprim17ROCPRIM_400000_NS6detail17trampoline_kernelINS0_14default_configENS1_25partition_config_selectorILNS1_17partition_subalgoE9EiibEEZZNS1_14partition_implILS5_9ELb0ES3_jPKiN6thrust23THRUST_200600_302600_NS17counting_iteratorIiNSB_11use_defaultESD_SD_EEPNS0_10empty_typeENS0_5tupleIJPiSF_EEENSH_IJSI_SG_EEENS0_18inequality_wrapperIN6hipcub16HIPCUB_304000_NS8EqualityEEEPlJSF_EEE10hipError_tPvRmT3_T4_T5_T6_T7_T9_mT8_P12ihipStream_tbDpT10_ENKUlT_T0_E_clISt17integral_constantIbLb0EES19_IbLb1EEEEDaS15_S16_EUlS15_E_NS1_11comp_targetILNS1_3genE0ELNS1_11target_archE4294967295ELNS1_3gpuE0ELNS1_3repE0EEENS1_30default_config_static_selectorELNS0_4arch9wavefront6targetE1EEEvT1_
                                        ; -- End function
	.section	.AMDGPU.csdata,"",@progbits
; Kernel info:
; codeLenInByte = 0
; NumSgprs: 4
; NumVgprs: 0
; NumAgprs: 0
; TotalNumVgprs: 0
; ScratchSize: 0
; MemoryBound: 0
; FloatMode: 240
; IeeeMode: 1
; LDSByteSize: 0 bytes/workgroup (compile time only)
; SGPRBlocks: 0
; VGPRBlocks: 0
; NumSGPRsForWavesPerEU: 4
; NumVGPRsForWavesPerEU: 1
; AccumOffset: 4
; Occupancy: 8
; WaveLimiterHint : 0
; COMPUTE_PGM_RSRC2:SCRATCH_EN: 0
; COMPUTE_PGM_RSRC2:USER_SGPR: 6
; COMPUTE_PGM_RSRC2:TRAP_HANDLER: 0
; COMPUTE_PGM_RSRC2:TGID_X_EN: 1
; COMPUTE_PGM_RSRC2:TGID_Y_EN: 0
; COMPUTE_PGM_RSRC2:TGID_Z_EN: 0
; COMPUTE_PGM_RSRC2:TIDIG_COMP_CNT: 0
; COMPUTE_PGM_RSRC3_GFX90A:ACCUM_OFFSET: 0
; COMPUTE_PGM_RSRC3_GFX90A:TG_SPLIT: 0
	.section	.text._ZN7rocprim17ROCPRIM_400000_NS6detail17trampoline_kernelINS0_14default_configENS1_25partition_config_selectorILNS1_17partition_subalgoE9EiibEEZZNS1_14partition_implILS5_9ELb0ES3_jPKiN6thrust23THRUST_200600_302600_NS17counting_iteratorIiNSB_11use_defaultESD_SD_EEPNS0_10empty_typeENS0_5tupleIJPiSF_EEENSH_IJSI_SG_EEENS0_18inequality_wrapperIN6hipcub16HIPCUB_304000_NS8EqualityEEEPlJSF_EEE10hipError_tPvRmT3_T4_T5_T6_T7_T9_mT8_P12ihipStream_tbDpT10_ENKUlT_T0_E_clISt17integral_constantIbLb0EES19_IbLb1EEEEDaS15_S16_EUlS15_E_NS1_11comp_targetILNS1_3genE5ELNS1_11target_archE942ELNS1_3gpuE9ELNS1_3repE0EEENS1_30default_config_static_selectorELNS0_4arch9wavefront6targetE1EEEvT1_,"axG",@progbits,_ZN7rocprim17ROCPRIM_400000_NS6detail17trampoline_kernelINS0_14default_configENS1_25partition_config_selectorILNS1_17partition_subalgoE9EiibEEZZNS1_14partition_implILS5_9ELb0ES3_jPKiN6thrust23THRUST_200600_302600_NS17counting_iteratorIiNSB_11use_defaultESD_SD_EEPNS0_10empty_typeENS0_5tupleIJPiSF_EEENSH_IJSI_SG_EEENS0_18inequality_wrapperIN6hipcub16HIPCUB_304000_NS8EqualityEEEPlJSF_EEE10hipError_tPvRmT3_T4_T5_T6_T7_T9_mT8_P12ihipStream_tbDpT10_ENKUlT_T0_E_clISt17integral_constantIbLb0EES19_IbLb1EEEEDaS15_S16_EUlS15_E_NS1_11comp_targetILNS1_3genE5ELNS1_11target_archE942ELNS1_3gpuE9ELNS1_3repE0EEENS1_30default_config_static_selectorELNS0_4arch9wavefront6targetE1EEEvT1_,comdat
	.protected	_ZN7rocprim17ROCPRIM_400000_NS6detail17trampoline_kernelINS0_14default_configENS1_25partition_config_selectorILNS1_17partition_subalgoE9EiibEEZZNS1_14partition_implILS5_9ELb0ES3_jPKiN6thrust23THRUST_200600_302600_NS17counting_iteratorIiNSB_11use_defaultESD_SD_EEPNS0_10empty_typeENS0_5tupleIJPiSF_EEENSH_IJSI_SG_EEENS0_18inequality_wrapperIN6hipcub16HIPCUB_304000_NS8EqualityEEEPlJSF_EEE10hipError_tPvRmT3_T4_T5_T6_T7_T9_mT8_P12ihipStream_tbDpT10_ENKUlT_T0_E_clISt17integral_constantIbLb0EES19_IbLb1EEEEDaS15_S16_EUlS15_E_NS1_11comp_targetILNS1_3genE5ELNS1_11target_archE942ELNS1_3gpuE9ELNS1_3repE0EEENS1_30default_config_static_selectorELNS0_4arch9wavefront6targetE1EEEvT1_ ; -- Begin function _ZN7rocprim17ROCPRIM_400000_NS6detail17trampoline_kernelINS0_14default_configENS1_25partition_config_selectorILNS1_17partition_subalgoE9EiibEEZZNS1_14partition_implILS5_9ELb0ES3_jPKiN6thrust23THRUST_200600_302600_NS17counting_iteratorIiNSB_11use_defaultESD_SD_EEPNS0_10empty_typeENS0_5tupleIJPiSF_EEENSH_IJSI_SG_EEENS0_18inequality_wrapperIN6hipcub16HIPCUB_304000_NS8EqualityEEEPlJSF_EEE10hipError_tPvRmT3_T4_T5_T6_T7_T9_mT8_P12ihipStream_tbDpT10_ENKUlT_T0_E_clISt17integral_constantIbLb0EES19_IbLb1EEEEDaS15_S16_EUlS15_E_NS1_11comp_targetILNS1_3genE5ELNS1_11target_archE942ELNS1_3gpuE9ELNS1_3repE0EEENS1_30default_config_static_selectorELNS0_4arch9wavefront6targetE1EEEvT1_
	.globl	_ZN7rocprim17ROCPRIM_400000_NS6detail17trampoline_kernelINS0_14default_configENS1_25partition_config_selectorILNS1_17partition_subalgoE9EiibEEZZNS1_14partition_implILS5_9ELb0ES3_jPKiN6thrust23THRUST_200600_302600_NS17counting_iteratorIiNSB_11use_defaultESD_SD_EEPNS0_10empty_typeENS0_5tupleIJPiSF_EEENSH_IJSI_SG_EEENS0_18inequality_wrapperIN6hipcub16HIPCUB_304000_NS8EqualityEEEPlJSF_EEE10hipError_tPvRmT3_T4_T5_T6_T7_T9_mT8_P12ihipStream_tbDpT10_ENKUlT_T0_E_clISt17integral_constantIbLb0EES19_IbLb1EEEEDaS15_S16_EUlS15_E_NS1_11comp_targetILNS1_3genE5ELNS1_11target_archE942ELNS1_3gpuE9ELNS1_3repE0EEENS1_30default_config_static_selectorELNS0_4arch9wavefront6targetE1EEEvT1_
	.p2align	8
	.type	_ZN7rocprim17ROCPRIM_400000_NS6detail17trampoline_kernelINS0_14default_configENS1_25partition_config_selectorILNS1_17partition_subalgoE9EiibEEZZNS1_14partition_implILS5_9ELb0ES3_jPKiN6thrust23THRUST_200600_302600_NS17counting_iteratorIiNSB_11use_defaultESD_SD_EEPNS0_10empty_typeENS0_5tupleIJPiSF_EEENSH_IJSI_SG_EEENS0_18inequality_wrapperIN6hipcub16HIPCUB_304000_NS8EqualityEEEPlJSF_EEE10hipError_tPvRmT3_T4_T5_T6_T7_T9_mT8_P12ihipStream_tbDpT10_ENKUlT_T0_E_clISt17integral_constantIbLb0EES19_IbLb1EEEEDaS15_S16_EUlS15_E_NS1_11comp_targetILNS1_3genE5ELNS1_11target_archE942ELNS1_3gpuE9ELNS1_3repE0EEENS1_30default_config_static_selectorELNS0_4arch9wavefront6targetE1EEEvT1_,@function
_ZN7rocprim17ROCPRIM_400000_NS6detail17trampoline_kernelINS0_14default_configENS1_25partition_config_selectorILNS1_17partition_subalgoE9EiibEEZZNS1_14partition_implILS5_9ELb0ES3_jPKiN6thrust23THRUST_200600_302600_NS17counting_iteratorIiNSB_11use_defaultESD_SD_EEPNS0_10empty_typeENS0_5tupleIJPiSF_EEENSH_IJSI_SG_EEENS0_18inequality_wrapperIN6hipcub16HIPCUB_304000_NS8EqualityEEEPlJSF_EEE10hipError_tPvRmT3_T4_T5_T6_T7_T9_mT8_P12ihipStream_tbDpT10_ENKUlT_T0_E_clISt17integral_constantIbLb0EES19_IbLb1EEEEDaS15_S16_EUlS15_E_NS1_11comp_targetILNS1_3genE5ELNS1_11target_archE942ELNS1_3gpuE9ELNS1_3repE0EEENS1_30default_config_static_selectorELNS0_4arch9wavefront6targetE1EEEvT1_: ; @_ZN7rocprim17ROCPRIM_400000_NS6detail17trampoline_kernelINS0_14default_configENS1_25partition_config_selectorILNS1_17partition_subalgoE9EiibEEZZNS1_14partition_implILS5_9ELb0ES3_jPKiN6thrust23THRUST_200600_302600_NS17counting_iteratorIiNSB_11use_defaultESD_SD_EEPNS0_10empty_typeENS0_5tupleIJPiSF_EEENSH_IJSI_SG_EEENS0_18inequality_wrapperIN6hipcub16HIPCUB_304000_NS8EqualityEEEPlJSF_EEE10hipError_tPvRmT3_T4_T5_T6_T7_T9_mT8_P12ihipStream_tbDpT10_ENKUlT_T0_E_clISt17integral_constantIbLb0EES19_IbLb1EEEEDaS15_S16_EUlS15_E_NS1_11comp_targetILNS1_3genE5ELNS1_11target_archE942ELNS1_3gpuE9ELNS1_3repE0EEENS1_30default_config_static_selectorELNS0_4arch9wavefront6targetE1EEEvT1_
; %bb.0:
	.section	.rodata,"a",@progbits
	.p2align	6, 0x0
	.amdhsa_kernel _ZN7rocprim17ROCPRIM_400000_NS6detail17trampoline_kernelINS0_14default_configENS1_25partition_config_selectorILNS1_17partition_subalgoE9EiibEEZZNS1_14partition_implILS5_9ELb0ES3_jPKiN6thrust23THRUST_200600_302600_NS17counting_iteratorIiNSB_11use_defaultESD_SD_EEPNS0_10empty_typeENS0_5tupleIJPiSF_EEENSH_IJSI_SG_EEENS0_18inequality_wrapperIN6hipcub16HIPCUB_304000_NS8EqualityEEEPlJSF_EEE10hipError_tPvRmT3_T4_T5_T6_T7_T9_mT8_P12ihipStream_tbDpT10_ENKUlT_T0_E_clISt17integral_constantIbLb0EES19_IbLb1EEEEDaS15_S16_EUlS15_E_NS1_11comp_targetILNS1_3genE5ELNS1_11target_archE942ELNS1_3gpuE9ELNS1_3repE0EEENS1_30default_config_static_selectorELNS0_4arch9wavefront6targetE1EEEvT1_
		.amdhsa_group_segment_fixed_size 0
		.amdhsa_private_segment_fixed_size 0
		.amdhsa_kernarg_size 128
		.amdhsa_user_sgpr_count 6
		.amdhsa_user_sgpr_private_segment_buffer 1
		.amdhsa_user_sgpr_dispatch_ptr 0
		.amdhsa_user_sgpr_queue_ptr 0
		.amdhsa_user_sgpr_kernarg_segment_ptr 1
		.amdhsa_user_sgpr_dispatch_id 0
		.amdhsa_user_sgpr_flat_scratch_init 0
		.amdhsa_user_sgpr_kernarg_preload_length 0
		.amdhsa_user_sgpr_kernarg_preload_offset 0
		.amdhsa_user_sgpr_private_segment_size 0
		.amdhsa_uses_dynamic_stack 0
		.amdhsa_system_sgpr_private_segment_wavefront_offset 0
		.amdhsa_system_sgpr_workgroup_id_x 1
		.amdhsa_system_sgpr_workgroup_id_y 0
		.amdhsa_system_sgpr_workgroup_id_z 0
		.amdhsa_system_sgpr_workgroup_info 0
		.amdhsa_system_vgpr_workitem_id 0
		.amdhsa_next_free_vgpr 1
		.amdhsa_next_free_sgpr 0
		.amdhsa_accum_offset 4
		.amdhsa_reserve_vcc 0
		.amdhsa_reserve_flat_scratch 0
		.amdhsa_float_round_mode_32 0
		.amdhsa_float_round_mode_16_64 0
		.amdhsa_float_denorm_mode_32 3
		.amdhsa_float_denorm_mode_16_64 3
		.amdhsa_dx10_clamp 1
		.amdhsa_ieee_mode 1
		.amdhsa_fp16_overflow 0
		.amdhsa_tg_split 0
		.amdhsa_exception_fp_ieee_invalid_op 0
		.amdhsa_exception_fp_denorm_src 0
		.amdhsa_exception_fp_ieee_div_zero 0
		.amdhsa_exception_fp_ieee_overflow 0
		.amdhsa_exception_fp_ieee_underflow 0
		.amdhsa_exception_fp_ieee_inexact 0
		.amdhsa_exception_int_div_zero 0
	.end_amdhsa_kernel
	.section	.text._ZN7rocprim17ROCPRIM_400000_NS6detail17trampoline_kernelINS0_14default_configENS1_25partition_config_selectorILNS1_17partition_subalgoE9EiibEEZZNS1_14partition_implILS5_9ELb0ES3_jPKiN6thrust23THRUST_200600_302600_NS17counting_iteratorIiNSB_11use_defaultESD_SD_EEPNS0_10empty_typeENS0_5tupleIJPiSF_EEENSH_IJSI_SG_EEENS0_18inequality_wrapperIN6hipcub16HIPCUB_304000_NS8EqualityEEEPlJSF_EEE10hipError_tPvRmT3_T4_T5_T6_T7_T9_mT8_P12ihipStream_tbDpT10_ENKUlT_T0_E_clISt17integral_constantIbLb0EES19_IbLb1EEEEDaS15_S16_EUlS15_E_NS1_11comp_targetILNS1_3genE5ELNS1_11target_archE942ELNS1_3gpuE9ELNS1_3repE0EEENS1_30default_config_static_selectorELNS0_4arch9wavefront6targetE1EEEvT1_,"axG",@progbits,_ZN7rocprim17ROCPRIM_400000_NS6detail17trampoline_kernelINS0_14default_configENS1_25partition_config_selectorILNS1_17partition_subalgoE9EiibEEZZNS1_14partition_implILS5_9ELb0ES3_jPKiN6thrust23THRUST_200600_302600_NS17counting_iteratorIiNSB_11use_defaultESD_SD_EEPNS0_10empty_typeENS0_5tupleIJPiSF_EEENSH_IJSI_SG_EEENS0_18inequality_wrapperIN6hipcub16HIPCUB_304000_NS8EqualityEEEPlJSF_EEE10hipError_tPvRmT3_T4_T5_T6_T7_T9_mT8_P12ihipStream_tbDpT10_ENKUlT_T0_E_clISt17integral_constantIbLb0EES19_IbLb1EEEEDaS15_S16_EUlS15_E_NS1_11comp_targetILNS1_3genE5ELNS1_11target_archE942ELNS1_3gpuE9ELNS1_3repE0EEENS1_30default_config_static_selectorELNS0_4arch9wavefront6targetE1EEEvT1_,comdat
.Lfunc_end37:
	.size	_ZN7rocprim17ROCPRIM_400000_NS6detail17trampoline_kernelINS0_14default_configENS1_25partition_config_selectorILNS1_17partition_subalgoE9EiibEEZZNS1_14partition_implILS5_9ELb0ES3_jPKiN6thrust23THRUST_200600_302600_NS17counting_iteratorIiNSB_11use_defaultESD_SD_EEPNS0_10empty_typeENS0_5tupleIJPiSF_EEENSH_IJSI_SG_EEENS0_18inequality_wrapperIN6hipcub16HIPCUB_304000_NS8EqualityEEEPlJSF_EEE10hipError_tPvRmT3_T4_T5_T6_T7_T9_mT8_P12ihipStream_tbDpT10_ENKUlT_T0_E_clISt17integral_constantIbLb0EES19_IbLb1EEEEDaS15_S16_EUlS15_E_NS1_11comp_targetILNS1_3genE5ELNS1_11target_archE942ELNS1_3gpuE9ELNS1_3repE0EEENS1_30default_config_static_selectorELNS0_4arch9wavefront6targetE1EEEvT1_, .Lfunc_end37-_ZN7rocprim17ROCPRIM_400000_NS6detail17trampoline_kernelINS0_14default_configENS1_25partition_config_selectorILNS1_17partition_subalgoE9EiibEEZZNS1_14partition_implILS5_9ELb0ES3_jPKiN6thrust23THRUST_200600_302600_NS17counting_iteratorIiNSB_11use_defaultESD_SD_EEPNS0_10empty_typeENS0_5tupleIJPiSF_EEENSH_IJSI_SG_EEENS0_18inequality_wrapperIN6hipcub16HIPCUB_304000_NS8EqualityEEEPlJSF_EEE10hipError_tPvRmT3_T4_T5_T6_T7_T9_mT8_P12ihipStream_tbDpT10_ENKUlT_T0_E_clISt17integral_constantIbLb0EES19_IbLb1EEEEDaS15_S16_EUlS15_E_NS1_11comp_targetILNS1_3genE5ELNS1_11target_archE942ELNS1_3gpuE9ELNS1_3repE0EEENS1_30default_config_static_selectorELNS0_4arch9wavefront6targetE1EEEvT1_
                                        ; -- End function
	.section	.AMDGPU.csdata,"",@progbits
; Kernel info:
; codeLenInByte = 0
; NumSgprs: 4
; NumVgprs: 0
; NumAgprs: 0
; TotalNumVgprs: 0
; ScratchSize: 0
; MemoryBound: 0
; FloatMode: 240
; IeeeMode: 1
; LDSByteSize: 0 bytes/workgroup (compile time only)
; SGPRBlocks: 0
; VGPRBlocks: 0
; NumSGPRsForWavesPerEU: 4
; NumVGPRsForWavesPerEU: 1
; AccumOffset: 4
; Occupancy: 8
; WaveLimiterHint : 0
; COMPUTE_PGM_RSRC2:SCRATCH_EN: 0
; COMPUTE_PGM_RSRC2:USER_SGPR: 6
; COMPUTE_PGM_RSRC2:TRAP_HANDLER: 0
; COMPUTE_PGM_RSRC2:TGID_X_EN: 1
; COMPUTE_PGM_RSRC2:TGID_Y_EN: 0
; COMPUTE_PGM_RSRC2:TGID_Z_EN: 0
; COMPUTE_PGM_RSRC2:TIDIG_COMP_CNT: 0
; COMPUTE_PGM_RSRC3_GFX90A:ACCUM_OFFSET: 0
; COMPUTE_PGM_RSRC3_GFX90A:TG_SPLIT: 0
	.section	.text._ZN7rocprim17ROCPRIM_400000_NS6detail17trampoline_kernelINS0_14default_configENS1_25partition_config_selectorILNS1_17partition_subalgoE9EiibEEZZNS1_14partition_implILS5_9ELb0ES3_jPKiN6thrust23THRUST_200600_302600_NS17counting_iteratorIiNSB_11use_defaultESD_SD_EEPNS0_10empty_typeENS0_5tupleIJPiSF_EEENSH_IJSI_SG_EEENS0_18inequality_wrapperIN6hipcub16HIPCUB_304000_NS8EqualityEEEPlJSF_EEE10hipError_tPvRmT3_T4_T5_T6_T7_T9_mT8_P12ihipStream_tbDpT10_ENKUlT_T0_E_clISt17integral_constantIbLb0EES19_IbLb1EEEEDaS15_S16_EUlS15_E_NS1_11comp_targetILNS1_3genE4ELNS1_11target_archE910ELNS1_3gpuE8ELNS1_3repE0EEENS1_30default_config_static_selectorELNS0_4arch9wavefront6targetE1EEEvT1_,"axG",@progbits,_ZN7rocprim17ROCPRIM_400000_NS6detail17trampoline_kernelINS0_14default_configENS1_25partition_config_selectorILNS1_17partition_subalgoE9EiibEEZZNS1_14partition_implILS5_9ELb0ES3_jPKiN6thrust23THRUST_200600_302600_NS17counting_iteratorIiNSB_11use_defaultESD_SD_EEPNS0_10empty_typeENS0_5tupleIJPiSF_EEENSH_IJSI_SG_EEENS0_18inequality_wrapperIN6hipcub16HIPCUB_304000_NS8EqualityEEEPlJSF_EEE10hipError_tPvRmT3_T4_T5_T6_T7_T9_mT8_P12ihipStream_tbDpT10_ENKUlT_T0_E_clISt17integral_constantIbLb0EES19_IbLb1EEEEDaS15_S16_EUlS15_E_NS1_11comp_targetILNS1_3genE4ELNS1_11target_archE910ELNS1_3gpuE8ELNS1_3repE0EEENS1_30default_config_static_selectorELNS0_4arch9wavefront6targetE1EEEvT1_,comdat
	.protected	_ZN7rocprim17ROCPRIM_400000_NS6detail17trampoline_kernelINS0_14default_configENS1_25partition_config_selectorILNS1_17partition_subalgoE9EiibEEZZNS1_14partition_implILS5_9ELb0ES3_jPKiN6thrust23THRUST_200600_302600_NS17counting_iteratorIiNSB_11use_defaultESD_SD_EEPNS0_10empty_typeENS0_5tupleIJPiSF_EEENSH_IJSI_SG_EEENS0_18inequality_wrapperIN6hipcub16HIPCUB_304000_NS8EqualityEEEPlJSF_EEE10hipError_tPvRmT3_T4_T5_T6_T7_T9_mT8_P12ihipStream_tbDpT10_ENKUlT_T0_E_clISt17integral_constantIbLb0EES19_IbLb1EEEEDaS15_S16_EUlS15_E_NS1_11comp_targetILNS1_3genE4ELNS1_11target_archE910ELNS1_3gpuE8ELNS1_3repE0EEENS1_30default_config_static_selectorELNS0_4arch9wavefront6targetE1EEEvT1_ ; -- Begin function _ZN7rocprim17ROCPRIM_400000_NS6detail17trampoline_kernelINS0_14default_configENS1_25partition_config_selectorILNS1_17partition_subalgoE9EiibEEZZNS1_14partition_implILS5_9ELb0ES3_jPKiN6thrust23THRUST_200600_302600_NS17counting_iteratorIiNSB_11use_defaultESD_SD_EEPNS0_10empty_typeENS0_5tupleIJPiSF_EEENSH_IJSI_SG_EEENS0_18inequality_wrapperIN6hipcub16HIPCUB_304000_NS8EqualityEEEPlJSF_EEE10hipError_tPvRmT3_T4_T5_T6_T7_T9_mT8_P12ihipStream_tbDpT10_ENKUlT_T0_E_clISt17integral_constantIbLb0EES19_IbLb1EEEEDaS15_S16_EUlS15_E_NS1_11comp_targetILNS1_3genE4ELNS1_11target_archE910ELNS1_3gpuE8ELNS1_3repE0EEENS1_30default_config_static_selectorELNS0_4arch9wavefront6targetE1EEEvT1_
	.globl	_ZN7rocprim17ROCPRIM_400000_NS6detail17trampoline_kernelINS0_14default_configENS1_25partition_config_selectorILNS1_17partition_subalgoE9EiibEEZZNS1_14partition_implILS5_9ELb0ES3_jPKiN6thrust23THRUST_200600_302600_NS17counting_iteratorIiNSB_11use_defaultESD_SD_EEPNS0_10empty_typeENS0_5tupleIJPiSF_EEENSH_IJSI_SG_EEENS0_18inequality_wrapperIN6hipcub16HIPCUB_304000_NS8EqualityEEEPlJSF_EEE10hipError_tPvRmT3_T4_T5_T6_T7_T9_mT8_P12ihipStream_tbDpT10_ENKUlT_T0_E_clISt17integral_constantIbLb0EES19_IbLb1EEEEDaS15_S16_EUlS15_E_NS1_11comp_targetILNS1_3genE4ELNS1_11target_archE910ELNS1_3gpuE8ELNS1_3repE0EEENS1_30default_config_static_selectorELNS0_4arch9wavefront6targetE1EEEvT1_
	.p2align	8
	.type	_ZN7rocprim17ROCPRIM_400000_NS6detail17trampoline_kernelINS0_14default_configENS1_25partition_config_selectorILNS1_17partition_subalgoE9EiibEEZZNS1_14partition_implILS5_9ELb0ES3_jPKiN6thrust23THRUST_200600_302600_NS17counting_iteratorIiNSB_11use_defaultESD_SD_EEPNS0_10empty_typeENS0_5tupleIJPiSF_EEENSH_IJSI_SG_EEENS0_18inequality_wrapperIN6hipcub16HIPCUB_304000_NS8EqualityEEEPlJSF_EEE10hipError_tPvRmT3_T4_T5_T6_T7_T9_mT8_P12ihipStream_tbDpT10_ENKUlT_T0_E_clISt17integral_constantIbLb0EES19_IbLb1EEEEDaS15_S16_EUlS15_E_NS1_11comp_targetILNS1_3genE4ELNS1_11target_archE910ELNS1_3gpuE8ELNS1_3repE0EEENS1_30default_config_static_selectorELNS0_4arch9wavefront6targetE1EEEvT1_,@function
_ZN7rocprim17ROCPRIM_400000_NS6detail17trampoline_kernelINS0_14default_configENS1_25partition_config_selectorILNS1_17partition_subalgoE9EiibEEZZNS1_14partition_implILS5_9ELb0ES3_jPKiN6thrust23THRUST_200600_302600_NS17counting_iteratorIiNSB_11use_defaultESD_SD_EEPNS0_10empty_typeENS0_5tupleIJPiSF_EEENSH_IJSI_SG_EEENS0_18inequality_wrapperIN6hipcub16HIPCUB_304000_NS8EqualityEEEPlJSF_EEE10hipError_tPvRmT3_T4_T5_T6_T7_T9_mT8_P12ihipStream_tbDpT10_ENKUlT_T0_E_clISt17integral_constantIbLb0EES19_IbLb1EEEEDaS15_S16_EUlS15_E_NS1_11comp_targetILNS1_3genE4ELNS1_11target_archE910ELNS1_3gpuE8ELNS1_3repE0EEENS1_30default_config_static_selectorELNS0_4arch9wavefront6targetE1EEEvT1_: ; @_ZN7rocprim17ROCPRIM_400000_NS6detail17trampoline_kernelINS0_14default_configENS1_25partition_config_selectorILNS1_17partition_subalgoE9EiibEEZZNS1_14partition_implILS5_9ELb0ES3_jPKiN6thrust23THRUST_200600_302600_NS17counting_iteratorIiNSB_11use_defaultESD_SD_EEPNS0_10empty_typeENS0_5tupleIJPiSF_EEENSH_IJSI_SG_EEENS0_18inequality_wrapperIN6hipcub16HIPCUB_304000_NS8EqualityEEEPlJSF_EEE10hipError_tPvRmT3_T4_T5_T6_T7_T9_mT8_P12ihipStream_tbDpT10_ENKUlT_T0_E_clISt17integral_constantIbLb0EES19_IbLb1EEEEDaS15_S16_EUlS15_E_NS1_11comp_targetILNS1_3genE4ELNS1_11target_archE910ELNS1_3gpuE8ELNS1_3repE0EEENS1_30default_config_static_selectorELNS0_4arch9wavefront6targetE1EEEvT1_
; %bb.0:
	s_load_dwordx4 s[20:23], s[4:5], 0x40
	s_load_dwordx2 s[6:7], s[4:5], 0x50
	s_load_dwordx2 s[30:31], s[4:5], 0x60
	v_cmp_ne_u32_e64 s[2:3], 0, v0
	v_cmp_eq_u32_e64 s[0:1], 0, v0
	s_and_saveexec_b64 s[8:9], s[0:1]
	s_cbranch_execz .LBB38_4
; %bb.1:
	s_mov_b64 s[12:13], exec
	v_mbcnt_lo_u32_b32 v1, s12, 0
	v_mbcnt_hi_u32_b32 v1, s13, v1
	v_cmp_eq_u32_e32 vcc, 0, v1
                                        ; implicit-def: $vgpr2
	s_and_saveexec_b64 s[10:11], vcc
	s_cbranch_execz .LBB38_3
; %bb.2:
	s_load_dwordx2 s[14:15], s[4:5], 0x70
	s_bcnt1_i32_b64 s12, s[12:13]
	v_mov_b32_e32 v2, 0
	v_mov_b32_e32 v3, s12
	s_waitcnt lgkmcnt(0)
	global_atomic_add v2, v2, v3, s[14:15] glc
.LBB38_3:
	s_or_b64 exec, exec, s[10:11]
	s_waitcnt vmcnt(0)
	v_readfirstlane_b32 s10, v2
	v_add_u32_e32 v1, s10, v1
	v_mov_b32_e32 v2, 0
	ds_write_b32 v2, v1
.LBB38_4:
	s_or_b64 exec, exec, s[8:9]
	v_mov_b32_e32 v1, 0
	s_load_dwordx4 s[8:11], s[4:5], 0x8
	s_load_dword s14, s[4:5], 0x18
	s_load_dwordx4 s[24:27], s[4:5], 0x28
	s_load_dword s15, s[4:5], 0x68
	s_waitcnt lgkmcnt(0)
	s_barrier
	ds_read_b32 v6, v1
	s_waitcnt lgkmcnt(0)
	s_barrier
	global_load_dwordx2 v[2:3], v1, s[22:23]
	s_lshl_b64 s[4:5], s[10:11], 2
	s_mul_i32 s16, s15, 0x540
	s_add_u32 s8, s8, s4
	s_addc_u32 s9, s9, s5
	s_add_i32 s4, s16, s10
	s_add_i32 s15, s15, -1
	s_sub_i32 s38, s6, s4
	s_add_u32 s4, s10, s16
	s_addc_u32 s5, s11, 0
	v_readfirstlane_b32 s33, v6
	v_mov_b32_e32 v4, s6
	v_mov_b32_e32 v5, s7
	s_cmp_eq_u32 s33, s15
	v_cmp_ge_u64_e32 vcc, s[4:5], v[4:5]
	s_cselect_b64 s[22:23], -1, 0
	s_mov_b32 s7, 0
	s_mul_i32 s6, s33, 0x540
	s_and_b64 s[16:17], vcc, s[22:23]
	s_lshl_b64 s[4:5], s[6:7], 2
	s_xor_b64 s[28:29], s[16:17], -1
	s_add_u32 s4, s8, s4
	s_mov_b64 s[12:13], -1
	s_addc_u32 s5, s9, s5
	s_and_b64 vcc, exec, s[28:29]
	s_waitcnt vmcnt(0)
	v_readfirstlane_b32 s18, v2
	v_readfirstlane_b32 s19, v3
	s_cbranch_vccz .LBB38_6
; %bb.5:
	v_lshlrev_b32_e32 v1, 2, v0
	v_mov_b32_e32 v2, s5
	v_add_co_u32_e32 v3, vcc, s4, v1
	v_addc_co_u32_e32 v4, vcc, 0, v2, vcc
	v_add_co_u32_e32 v2, vcc, 0x1000, v3
	v_addc_co_u32_e32 v3, vcc, 0, v4, vcc
	global_load_dword v4, v1, s[4:5]
	global_load_dword v5, v1, s[4:5] offset:768
	global_load_dword v6, v1, s[4:5] offset:1536
	;; [unrolled: 1-line block ×5, first 2 shown]
	global_load_dword v10, v[2:3], off offset:512
	s_mov_b64 s[12:13], 0
	s_waitcnt vmcnt(5)
	ds_write2st64_b32 v1, v4, v5 offset1:3
	s_waitcnt vmcnt(3)
	ds_write2st64_b32 v1, v6, v7 offset0:6 offset1:9
	s_waitcnt vmcnt(1)
	ds_write2st64_b32 v1, v8, v9 offset0:12 offset1:15
	s_waitcnt vmcnt(0)
	ds_write_b32 v1, v10 offset:4608
	s_waitcnt lgkmcnt(0)
	s_barrier
.LBB38_6:
	s_andn2_b64 vcc, exec, s[12:13]
	s_addk_i32 s38, 0x540
	s_cbranch_vccnz .LBB38_22
; %bb.7:
	v_cmp_gt_u32_e32 vcc, s38, v0
                                        ; implicit-def: $vgpr2_vgpr3_vgpr4_vgpr5_vgpr6_vgpr7_vgpr8
	s_and_saveexec_b64 s[8:9], vcc
	s_cbranch_execz .LBB38_9
; %bb.8:
	v_lshlrev_b32_e32 v1, 2, v0
	global_load_dword v2, v1, s[4:5]
.LBB38_9:
	s_or_b64 exec, exec, s[8:9]
	v_add_u32_e32 v1, 0xc0, v0
	v_cmp_gt_u32_e32 vcc, s38, v1
	s_and_saveexec_b64 s[8:9], vcc
	s_cbranch_execz .LBB38_11
; %bb.10:
	v_lshlrev_b32_e32 v1, 2, v0
	global_load_dword v3, v1, s[4:5] offset:768
.LBB38_11:
	s_or_b64 exec, exec, s[8:9]
	v_add_u32_e32 v1, 0x180, v0
	v_cmp_gt_u32_e32 vcc, s38, v1
	s_and_saveexec_b64 s[8:9], vcc
	s_cbranch_execz .LBB38_13
; %bb.12:
	v_lshlrev_b32_e32 v1, 2, v0
	global_load_dword v4, v1, s[4:5] offset:1536
.LBB38_13:
	;; [unrolled: 9-line block ×3, first 2 shown]
	s_or_b64 exec, exec, s[8:9]
	v_or_b32_e32 v1, 0x300, v0
	v_cmp_gt_u32_e32 vcc, s38, v1
	s_and_saveexec_b64 s[8:9], vcc
	s_cbranch_execz .LBB38_17
; %bb.16:
	v_lshlrev_b32_e32 v1, 2, v0
	global_load_dword v6, v1, s[4:5] offset:3072
.LBB38_17:
	s_or_b64 exec, exec, s[8:9]
	v_add_u32_e32 v1, 0x3c0, v0
	v_cmp_gt_u32_e32 vcc, s38, v1
	s_and_saveexec_b64 s[8:9], vcc
	s_cbranch_execz .LBB38_19
; %bb.18:
	v_lshlrev_b32_e32 v1, 2, v0
	global_load_dword v7, v1, s[4:5] offset:3840
.LBB38_19:
	s_or_b64 exec, exec, s[8:9]
	v_add_u32_e32 v1, 0x480, v0
	v_cmp_gt_u32_e32 vcc, s38, v1
	s_and_saveexec_b64 s[8:9], vcc
	s_cbranch_execz .LBB38_21
; %bb.20:
	v_lshlrev_b32_e32 v1, 2, v1
	global_load_dword v8, v1, s[4:5]
.LBB38_21:
	s_or_b64 exec, exec, s[8:9]
	v_lshlrev_b32_e32 v1, 2, v0
	s_waitcnt vmcnt(0)
	ds_write2st64_b32 v1, v2, v3 offset1:3
	ds_write2st64_b32 v1, v4, v5 offset0:6 offset1:9
	ds_write2st64_b32 v1, v6, v7 offset0:12 offset1:15
	ds_write_b32 v1, v8 offset:4608
	s_waitcnt lgkmcnt(0)
	s_barrier
.LBB38_22:
	v_mul_u32_u24_e32 v16, 7, v0
	v_lshlrev_b32_e32 v8, 2, v16
	ds_read2_b32 v[14:15], v8 offset1:1
	ds_read2_b32 v[12:13], v8 offset0:2 offset1:3
	ds_read2_b32 v[10:11], v8 offset0:4 offset1:5
	ds_read_b32 v34, v8 offset:24
	s_add_i32 s7, s14, s10
	s_add_i32 s7, s7, s6
	v_add_u32_e32 v1, s7, v0
	s_mov_b64 s[6:7], -1
	s_and_b64 vcc, exec, s[28:29]
	s_waitcnt lgkmcnt(0)
	s_barrier
	s_cbranch_vccz .LBB38_24
; %bb.23:
	v_add_u32_e32 v2, 0xc0, v1
	v_lshlrev_b32_e32 v9, 2, v0
	v_add_u32_e32 v3, 0x180, v1
	v_add_u32_e32 v4, 0x240, v1
	;; [unrolled: 1-line block ×5, first 2 shown]
	ds_write2st64_b32 v9, v1, v2 offset1:3
	ds_write2st64_b32 v9, v3, v4 offset0:6 offset1:9
	ds_write2st64_b32 v9, v5, v6 offset0:12 offset1:15
	ds_write_b32 v9, v7 offset:4608
	s_waitcnt lgkmcnt(0)
	s_barrier
	s_mov_b64 s[6:7], 0
.LBB38_24:
	s_andn2_b64 vcc, exec, s[6:7]
	s_cbranch_vccnz .LBB38_26
; %bb.25:
	s_movk_i32 s6, 0xffe8
	v_add_u32_e32 v2, 0xc0, v1
	v_mad_i32_i24 v9, v0, s6, v8
	v_add_u32_e32 v3, 0x180, v1
	v_add_u32_e32 v4, 0x240, v1
	;; [unrolled: 1-line block ×5, first 2 shown]
	ds_write2st64_b32 v9, v1, v2 offset1:3
	ds_write2st64_b32 v9, v3, v4 offset0:6 offset1:9
	ds_write2st64_b32 v9, v5, v6 offset0:12 offset1:15
	ds_write_b32 v9, v7 offset:4608
	s_waitcnt lgkmcnt(0)
	s_barrier
.LBB38_26:
	ds_read2_b32 v[6:7], v8 offset1:1
	ds_read2_b32 v[4:5], v8 offset0:2 offset1:3
	ds_read2_b32 v[2:3], v8 offset0:4 offset1:5
	ds_read_b32 v1, v8 offset:24
	s_cmp_lg_u32 s33, 0
	s_cselect_b64 s[34:35], -1, 0
	s_cmp_lg_u64 s[10:11], 0
	s_cselect_b64 s[6:7], -1, 0
	s_or_b64 s[6:7], s[6:7], s[34:35]
	v_add_u32_e32 v22, 1, v16
	v_add_u32_e32 v21, 2, v16
	;; [unrolled: 1-line block ×6, first 2 shown]
	s_mov_b64 s[36:37], 0
	s_and_b64 vcc, exec, s[6:7]
	s_waitcnt lgkmcnt(0)
	s_barrier
	s_cbranch_vccz .LBB38_31
; %bb.27:
	v_mov_b32_e32 v9, 0
	global_load_dword v9, v9, s[4:5] offset:-4
	v_lshlrev_b32_e32 v27, 2, v0
	s_and_b64 vcc, exec, s[28:29]
	ds_write_b32 v27, v34
	s_cbranch_vccz .LBB38_33
; %bb.28:
	s_waitcnt vmcnt(0)
	v_mov_b32_e32 v26, v9
	s_waitcnt lgkmcnt(0)
	s_barrier
	s_and_saveexec_b64 s[4:5], s[2:3]
	s_cbranch_execz .LBB38_30
; %bb.29:
	v_add_u32_e32 v23, -4, v27
	ds_read_b32 v26, v23
.LBB38_30:
	s_or_b64 exec, exec, s[4:5]
	v_cmp_ne_u32_e32 vcc, v11, v34
	v_cndmask_b32_e64 v25, 0, 1, vcc
	v_cmp_ne_u32_e32 vcc, v10, v11
	v_cndmask_b32_e64 v23, 0, 1, vcc
	;; [unrolled: 2-line block ×6, first 2 shown]
	s_waitcnt lgkmcnt(0)
	v_cmp_ne_u32_e64 s[4:5], v26, v14
	v_lshlrev_b16_e32 v26, 8, v28
	v_or_b32_sdwa v26, v29, v26 dst_sel:WORD_1 dst_unused:UNUSED_PAD src0_sel:DWORD src1_sel:DWORD
	v_lshlrev_b16_e32 v28, 8, v30
	v_or_b32_e32 v26, v28, v26
	s_branch .LBB38_37
.LBB38_31:
                                        ; implicit-def: $sgpr4_sgpr5
                                        ; implicit-def: $vgpr25
                                        ; implicit-def: $vgpr23
                                        ; implicit-def: $vgpr24
                                        ; implicit-def: $vgpr26
	s_branch .LBB38_38
.LBB38_32:
                                        ; implicit-def: $vgpr8_vgpr9
	s_and_saveexec_b64 s[2:3], s[36:37]
	s_cbranch_execnz .LBB38_46
	s_branch .LBB38_47
.LBB38_33:
                                        ; implicit-def: $sgpr4_sgpr5
                                        ; implicit-def: $vgpr25
                                        ; implicit-def: $vgpr23
                                        ; implicit-def: $vgpr24
                                        ; implicit-def: $vgpr26
	s_cbranch_execz .LBB38_37
; %bb.34:
	s_waitcnt lgkmcnt(0)
	s_barrier
	s_and_saveexec_b64 s[4:5], s[2:3]
	s_cbranch_execz .LBB38_36
; %bb.35:
	s_waitcnt vmcnt(0)
	v_add_u32_e32 v9, -4, v27
	ds_read_b32 v9, v9
.LBB38_36:
	s_or_b64 exec, exec, s[4:5]
	v_cmp_gt_u32_e32 vcc, s38, v17
	v_cmp_ne_u32_e64 s[4:5], v11, v34
	s_and_b64 s[4:5], vcc, s[4:5]
	v_cndmask_b32_e64 v25, 0, 1, s[4:5]
	v_cmp_gt_u32_e32 vcc, s38, v18
	v_cmp_ne_u32_e64 s[4:5], v10, v11
	s_and_b64 s[4:5], vcc, s[4:5]
	v_cndmask_b32_e64 v23, 0, 1, s[4:5]
	;; [unrolled: 4-line block ×6, first 2 shown]
	s_waitcnt vmcnt(0) lgkmcnt(0)
	v_cmp_ne_u32_e64 s[4:5], v9, v14
	v_lshlrev_b16_e32 v9, 8, v26
	v_cmp_gt_u32_e32 vcc, s38, v16
	v_or_b32_sdwa v9, v27, v9 dst_sel:WORD_1 dst_unused:UNUSED_PAD src0_sel:DWORD src1_sel:DWORD
	v_lshlrev_b16_e32 v26, 8, v28
	s_and_b64 s[4:5], vcc, s[4:5]
	v_or_b32_e32 v26, v26, v9
.LBB38_37:
	s_mov_b64 s[36:37], -1
	s_cbranch_execnz .LBB38_32
.LBB38_38:
	s_movk_i32 s4, 0xffe8
	v_mad_i32_i24 v27, v0, s4, v8
	s_and_b64 vcc, exec, s[28:29]
	v_cmp_ne_u32_e64 s[4:5], v11, v34
	v_cmp_ne_u32_e64 s[6:7], v10, v11
	;; [unrolled: 1-line block ×6, first 2 shown]
	ds_write_b32 v27, v34
	s_cbranch_vccz .LBB38_42
; %bb.39:
	v_cndmask_b32_e64 v23, 0, 1, s[6:7]
	v_cndmask_b32_e64 v8, 0, 1, s[10:11]
	v_cndmask_b32_e64 v24, 0, 1, s[8:9]
	v_cndmask_b32_e64 v26, 0, 1, s[12:13]
	v_cndmask_b32_e64 v28, 0, 1, s[14:15]
	s_waitcnt vmcnt(0)
	v_lshlrev_b16_e32 v9, 8, v23
	v_lshlrev_b16_e32 v8, 8, v8
	v_or_b32_e32 v9, v24, v9
	v_or_b32_sdwa v8, v26, v8 dst_sel:WORD_1 dst_unused:UNUSED_PAD src0_sel:DWORD src1_sel:DWORD
	v_lshlrev_b16_e32 v26, 8, v28
	v_and_b32_e32 v9, 0xffff, v9
	v_cndmask_b32_e64 v25, 0, 1, s[4:5]
	v_or_b32_e32 v26, 1, v26
	v_lshl_or_b32 v9, v25, 16, v9
	v_or_b32_sdwa v8, v26, v8 dst_sel:DWORD dst_unused:UNUSED_PAD src0_sel:WORD_0 src1_sel:DWORD
	s_waitcnt lgkmcnt(0)
	s_barrier
	s_waitcnt lgkmcnt(0)
                                        ; implicit-def: $sgpr4_sgpr5
                                        ; implicit-def: $vgpr26
	s_and_saveexec_b64 s[6:7], s[2:3]
	s_xor_b64 s[6:7], exec, s[6:7]
	s_cbranch_execz .LBB38_41
; %bb.40:
	v_add_u32_e32 v9, -4, v27
	ds_read_b32 v9, v9
	s_mov_b32 s4, 0x3020104
	v_perm_b32 v26, v8, v8, s4
	s_or_b64 s[36:37], s[36:37], exec
	s_waitcnt lgkmcnt(0)
	v_cmp_ne_u32_e32 vcc, v9, v14
	s_and_b64 s[4:5], vcc, exec
                                        ; implicit-def: $vgpr8_vgpr9
.LBB38_41:
	s_or_b64 exec, exec, s[6:7]
	s_branch .LBB38_45
.LBB38_42:
                                        ; implicit-def: $sgpr4_sgpr5
                                        ; implicit-def: $vgpr25
                                        ; implicit-def: $vgpr23
                                        ; implicit-def: $vgpr24
                                        ; implicit-def: $vgpr26
                                        ; implicit-def: $vgpr8_vgpr9
	s_cbranch_execz .LBB38_45
; %bb.43:
	v_cmp_gt_u32_e64 s[6:7], s38, v18
	v_cmp_ne_u32_e64 s[8:9], v10, v11
	s_and_b64 s[6:7], s[6:7], s[8:9]
	v_cndmask_b32_e64 v23, 0, 1, s[6:7]
	v_cmp_gt_u32_e64 s[6:7], s38, v19
	v_cmp_ne_u32_e64 s[8:9], v13, v10
	s_and_b64 s[6:7], s[6:7], s[8:9]
	v_cndmask_b32_e64 v24, 0, 1, s[6:7]
	v_cmp_gt_u32_e64 s[6:7], s38, v20
	v_cmp_ne_u32_e64 s[8:9], v12, v13
	s_and_b64 s[6:7], s[6:7], s[8:9]
	v_cndmask_b32_e64 v8, 0, 1, s[6:7]
	v_cmp_gt_u32_e64 s[6:7], s38, v21
	v_cmp_ne_u32_e64 s[8:9], v15, v12
	s_and_b64 s[6:7], s[6:7], s[8:9]
	v_cndmask_b32_e64 v26, 0, 1, s[6:7]
	v_cmp_gt_u32_e64 s[6:7], s38, v22
	v_cmp_ne_u32_e64 s[8:9], v14, v15
	s_and_b64 s[6:7], s[6:7], s[8:9]
	v_cmp_gt_u32_e32 vcc, s38, v17
	v_cmp_ne_u32_e64 s[4:5], v11, v34
	v_cndmask_b32_e64 v28, 0, 1, s[6:7]
	s_waitcnt vmcnt(0)
	v_lshlrev_b16_e32 v9, 8, v23
	v_lshlrev_b16_e32 v8, 8, v8
	v_or_b32_e32 v9, v24, v9
	s_and_b64 s[4:5], vcc, s[4:5]
	v_or_b32_sdwa v8, v26, v8 dst_sel:WORD_1 dst_unused:UNUSED_PAD src0_sel:DWORD src1_sel:DWORD
	v_lshlrev_b16_e32 v26, 8, v28
	v_and_b32_e32 v9, 0xffff, v9
	v_cndmask_b32_e64 v25, 0, 1, s[4:5]
	v_or_b32_e32 v26, 1, v26
	v_lshl_or_b32 v9, v25, 16, v9
	v_or_b32_sdwa v8, v26, v8 dst_sel:DWORD dst_unused:UNUSED_PAD src0_sel:WORD_0 src1_sel:DWORD
	s_waitcnt lgkmcnt(0)
	s_barrier
	s_waitcnt lgkmcnt(0)
                                        ; implicit-def: $sgpr4_sgpr5
                                        ; implicit-def: $vgpr26
	s_and_saveexec_b64 s[6:7], s[2:3]
	s_cbranch_execz .LBB38_173
; %bb.44:
	v_add_u32_e32 v9, -4, v27
	ds_read_b32 v9, v9
	s_mov_b32 s2, 0x3020104
	v_cmp_gt_u32_e32 vcc, s38, v16
	v_perm_b32 v26, v8, v8, s2
	s_or_b64 s[36:37], s[36:37], exec
	s_waitcnt lgkmcnt(0)
	v_cmp_ne_u32_e64 s[2:3], v9, v14
	s_and_b64 s[2:3], vcc, s[2:3]
	s_and_b64 s[4:5], s[2:3], exec
                                        ; implicit-def: $vgpr8_vgpr9
	s_or_b64 exec, exec, s[6:7]
.LBB38_45:
	s_and_saveexec_b64 s[2:3], s[36:37]
	s_cbranch_execz .LBB38_47
.LBB38_46:
	s_waitcnt vmcnt(0)
	v_lshlrev_b16_e32 v9, 8, v23
	v_and_b32_e32 v23, 0xff, v25
	v_or_b32_sdwa v9, v24, v9 dst_sel:DWORD dst_unused:UNUSED_PAD src0_sel:BYTE_0 src1_sel:DWORD
	v_lshlrev_b32_e32 v23, 16, v23
	v_cndmask_b32_e64 v8, 0, 1, s[4:5]
	s_movk_i32 s4, 0xff
	v_or_b32_sdwa v9, v9, v23 dst_sel:DWORD dst_unused:UNUSED_PAD src0_sel:WORD_0 src1_sel:DWORD
	v_lshrrev_b32_e32 v23, 24, v26
	v_lshlrev_b16_e32 v23, 8, v23
	v_and_b32_sdwa v24, v26, s4 dst_sel:DWORD dst_unused:UNUSED_PAD src0_sel:WORD_1 src1_sel:DWORD
	v_or_b32_sdwa v23, v24, v23 dst_sel:WORD_1 dst_unused:UNUSED_PAD src0_sel:DWORD src1_sel:DWORD
	v_mov_b32_e32 v24, 8
	v_lshrrev_b32_sdwa v24, v24, v26 dst_sel:BYTE_1 dst_unused:UNUSED_PAD src0_sel:DWORD src1_sel:DWORD
	v_or_b32_e32 v8, v8, v24
	v_or_b32_sdwa v8, v8, v23 dst_sel:DWORD dst_unused:UNUSED_PAD src0_sel:WORD_0 src1_sel:DWORD
.LBB38_47:
	s_or_b64 exec, exec, s[2:3]
	s_andn2_b64 vcc, exec, s[16:17]
	s_cbranch_vccnz .LBB38_49
; %bb.48:
	v_and_b32_e32 v23, 0xffff0000, v8
	v_cmp_gt_u32_e32 vcc, s38, v16
	v_cndmask_b32_e32 v16, v23, v8, vcc
	v_and_b32_e32 v16, 0xffff00ff, v16
	v_cmp_gt_u32_e32 vcc, s38, v22
	v_cndmask_b32_e32 v16, v16, v8, vcc
	v_lshrrev_b32_e32 v22, 24, v16
	s_mov_b32 s2, 0x40c0100
	v_perm_b32 v16, v22, v16, s2
	v_cmp_gt_u32_e32 vcc, s38, v21
	v_cndmask_b32_e32 v16, v16, v8, vcc
	v_and_b32_e32 v16, 0xffffff, v16
	v_cmp_gt_u32_e32 vcc, s38, v20
	v_cndmask_b32_e32 v16, v16, v8, vcc
	s_waitcnt vmcnt(0)
	v_and_b32_e32 v20, 0xffffff00, v9
	v_cmp_gt_u32_e32 vcc, s38, v19
	v_cndmask_b32_e32 v19, v20, v9, vcc
	v_and_b32_e32 v19, 0xffff00ff, v19
	v_cndmask_b32_e32 v16, v16, v8, vcc
	v_cmp_gt_u32_e32 vcc, s38, v18
	v_cndmask_b32_e32 v18, v19, v9, vcc
	v_lshrrev_b32_e32 v19, 24, v18
	v_cndmask_b32_e32 v16, v16, v8, vcc
	v_perm_b32 v18, v19, v18, s2
	v_cmp_gt_u32_e32 vcc, s38, v17
	v_cndmask_b32_e32 v8, v16, v8, vcc
	v_cndmask_b32_e32 v9, v18, v9, vcc
	v_mov_b32_e32 v16, 8
	v_lshrrev_b32_sdwa v16, v16, v9 dst_sel:BYTE_1 dst_unused:UNUSED_PAD src0_sel:DWORD src1_sel:DWORD
	v_or_b32_sdwa v16, v9, v16 dst_sel:DWORD dst_unused:UNUSED_PAD src0_sel:BYTE_0 src1_sel:DWORD
	v_and_b32_e32 v16, 0xffff, v16
	v_bfe_u32 v9, v9, 16, 8
	s_mov_b32 s2, 0x3020104
	v_lshl_or_b32 v9, v9, 16, v16
	v_perm_b32 v8, v8, v8, s2
.LBB38_49:
	v_and_b32_e32 v27, 0xff, v8
	v_bfe_u32 v29, v8, 8, 8
	v_bfe_u32 v31, v8, 16, 8
	s_waitcnt vmcnt(0)
	v_alignbit_b32 v16, v9, v8, 24
	v_and_b32_e32 v33, 0xff, v16
	v_and_b32_e32 v35, 0xff, v9
	v_add3_u32 v17, v29, v27, v31
	v_bfe_u32 v36, v9, 8, 8
	v_bfe_u32 v16, v9, 16, 8
	v_add3_u32 v17, v17, v33, v35
	v_add3_u32 v39, v17, v36, v16
	v_mbcnt_lo_u32_b32 v16, -1, 0
	v_mbcnt_hi_u32_b32 v37, -1, v16
	v_and_b32_e32 v16, 15, v37
	v_cmp_eq_u32_e64 s[14:15], 0, v16
	v_cmp_lt_u32_e64 s[12:13], 1, v16
	v_cmp_lt_u32_e64 s[10:11], 3, v16
	;; [unrolled: 1-line block ×3, first 2 shown]
	v_and_b32_e32 v16, 16, v37
	v_cmp_eq_u32_e64 s[4:5], 0, v16
	v_and_b32_e32 v16, 0xc0, v0
	v_min_u32_e32 v16, 0x80, v16
	v_or_b32_e32 v16, 63, v16
	v_cmp_lt_u32_e64 s[2:3], 31, v37
	v_lshrrev_b32_e32 v38, 6, v0
	v_cmp_eq_u32_e64 s[6:7], v16, v0
	s_and_b64 vcc, exec, s[34:35]
	s_waitcnt lgkmcnt(0)
	s_barrier
	s_cbranch_vccz .LBB38_76
; %bb.50:
	v_mov_b32_dpp v16, v39 row_shr:1 row_mask:0xf bank_mask:0xf
	v_cndmask_b32_e64 v16, v16, 0, s[14:15]
	v_add_u32_e32 v16, v16, v39
	s_nop 1
	v_mov_b32_dpp v17, v16 row_shr:2 row_mask:0xf bank_mask:0xf
	v_cndmask_b32_e64 v17, 0, v17, s[12:13]
	v_add_u32_e32 v16, v16, v17
	s_nop 1
	;; [unrolled: 4-line block ×4, first 2 shown]
	v_mov_b32_dpp v17, v16 row_bcast:15 row_mask:0xf bank_mask:0xf
	v_cndmask_b32_e64 v17, v17, 0, s[4:5]
	v_add_u32_e32 v16, v16, v17
	s_nop 1
	v_mov_b32_dpp v17, v16 row_bcast:31 row_mask:0xf bank_mask:0xf
	v_cndmask_b32_e64 v17, 0, v17, s[2:3]
	v_add_u32_e32 v16, v16, v17
	s_and_saveexec_b64 s[16:17], s[6:7]
	s_cbranch_execz .LBB38_52
; %bb.51:
	v_lshlrev_b32_e32 v17, 2, v38
	ds_write_b32 v17, v16
.LBB38_52:
	s_or_b64 exec, exec, s[16:17]
	v_cmp_gt_u32_e32 vcc, 3, v0
	s_waitcnt lgkmcnt(0)
	s_barrier
	s_and_saveexec_b64 s[16:17], vcc
	s_cbranch_execz .LBB38_54
; %bb.53:
	v_lshlrev_b32_e32 v17, 2, v0
	ds_read_b32 v18, v17
	v_and_b32_e32 v19, 3, v37
	v_cmp_ne_u32_e32 vcc, 0, v19
	s_waitcnt lgkmcnt(0)
	v_mov_b32_dpp v20, v18 row_shr:1 row_mask:0xf bank_mask:0xf
	v_cndmask_b32_e32 v20, 0, v20, vcc
	v_add_u32_e32 v18, v20, v18
	v_cmp_lt_u32_e32 vcc, 1, v19
	s_nop 0
	v_mov_b32_dpp v20, v18 row_shr:2 row_mask:0xf bank_mask:0xf
	v_cndmask_b32_e32 v19, 0, v20, vcc
	v_add_u32_e32 v18, v18, v19
	ds_write_b32 v17, v18
.LBB38_54:
	s_or_b64 exec, exec, s[16:17]
	v_cmp_gt_u32_e32 vcc, 64, v0
	v_cmp_lt_u32_e64 s[16:17], 63, v0
	s_waitcnt lgkmcnt(0)
	s_barrier
	s_waitcnt lgkmcnt(0)
                                        ; implicit-def: $vgpr26
	s_and_saveexec_b64 s[34:35], s[16:17]
	s_cbranch_execz .LBB38_56
; %bb.55:
	v_lshl_add_u32 v17, v38, 2, -4
	ds_read_b32 v26, v17
	s_waitcnt lgkmcnt(0)
	v_add_u32_e32 v16, v26, v16
.LBB38_56:
	s_or_b64 exec, exec, s[34:35]
	v_add_u32_e32 v17, -1, v37
	v_and_b32_e32 v18, 64, v37
	v_cmp_lt_i32_e64 s[16:17], v17, v18
	v_cndmask_b32_e64 v17, v17, v37, s[16:17]
	v_lshlrev_b32_e32 v17, 2, v17
	ds_bpermute_b32 v28, v17, v16
	v_cmp_eq_u32_e64 s[16:17], 0, v37
	s_and_saveexec_b64 s[34:35], vcc
	s_cbranch_execz .LBB38_75
; %bb.57:
	v_mov_b32_e32 v23, 0
	ds_read_b32 v16, v23 offset:8
	s_and_saveexec_b64 s[36:37], s[16:17]
	s_cbranch_execz .LBB38_59
; %bb.58:
	s_add_i32 s38, s33, 64
	s_mov_b32 s39, 0
	s_lshl_b64 s[38:39], s[38:39], 3
	s_add_u32 s38, s30, s38
	v_mov_b32_e32 v17, 1
	s_addc_u32 s39, s31, s39
	s_waitcnt lgkmcnt(0)
	global_store_dwordx2 v23, v[16:17], s[38:39]
.LBB38_59:
	s_or_b64 exec, exec, s[36:37]
	v_xad_u32 v18, v37, -1, s33
	v_add_u32_e32 v22, 64, v18
	v_lshlrev_b64 v[20:21], 3, v[22:23]
	v_mov_b32_e32 v17, s31
	v_add_co_u32_e32 v24, vcc, s30, v20
	v_addc_co_u32_e32 v25, vcc, v17, v21, vcc
	global_load_dwordx2 v[20:21], v[24:25], off glc
	s_waitcnt vmcnt(0)
	v_cmp_eq_u16_sdwa s[38:39], v21, v23 src0_sel:BYTE_0 src1_sel:DWORD
	s_and_saveexec_b64 s[36:37], s[38:39]
	s_cbranch_execz .LBB38_63
; %bb.60:
	s_mov_b64 s[38:39], 0
	v_mov_b32_e32 v17, 0
.LBB38_61:                              ; =>This Inner Loop Header: Depth=1
	global_load_dwordx2 v[20:21], v[24:25], off glc
	s_waitcnt vmcnt(0)
	v_cmp_ne_u16_sdwa s[40:41], v21, v17 src0_sel:BYTE_0 src1_sel:DWORD
	s_or_b64 s[38:39], s[40:41], s[38:39]
	s_andn2_b64 exec, exec, s[38:39]
	s_cbranch_execnz .LBB38_61
; %bb.62:
	s_or_b64 exec, exec, s[38:39]
.LBB38_63:
	s_or_b64 exec, exec, s[36:37]
	v_and_b32_e32 v32, 63, v37
	v_mov_b32_e32 v30, 2
	v_cmp_ne_u32_e32 vcc, 63, v32
	v_cmp_eq_u16_sdwa s[36:37], v21, v30 src0_sel:BYTE_0 src1_sel:DWORD
	v_lshlrev_b64 v[22:23], v37, -1
	v_addc_co_u32_e32 v24, vcc, 0, v37, vcc
	v_and_b32_e32 v17, s37, v23
	v_lshlrev_b32_e32 v40, 2, v24
	v_or_b32_e32 v17, 0x80000000, v17
	ds_bpermute_b32 v24, v40, v20
	v_and_b32_e32 v19, s36, v22
	v_ffbl_b32_e32 v17, v17
	v_add_u32_e32 v17, 32, v17
	v_ffbl_b32_e32 v19, v19
	v_min_u32_e32 v17, v19, v17
	v_cmp_lt_u32_e32 vcc, v32, v17
	s_waitcnt lgkmcnt(0)
	v_cndmask_b32_e32 v19, 0, v24, vcc
	v_cmp_gt_u32_e32 vcc, 62, v32
	v_add_u32_e32 v19, v19, v20
	v_cndmask_b32_e64 v20, 0, 1, vcc
	v_lshlrev_b32_e32 v20, 1, v20
	v_add_lshl_u32 v41, v20, v37, 2
	ds_bpermute_b32 v20, v41, v19
	v_add_u32_e32 v42, 2, v32
	v_cmp_le_u32_e32 vcc, v42, v17
	v_add_u32_e32 v44, 4, v32
	v_add_u32_e32 v46, 8, v32
	s_waitcnt lgkmcnt(0)
	v_cndmask_b32_e32 v20, 0, v20, vcc
	v_cmp_gt_u32_e32 vcc, 60, v32
	v_add_u32_e32 v19, v19, v20
	v_cndmask_b32_e64 v20, 0, 1, vcc
	v_lshlrev_b32_e32 v20, 2, v20
	v_add_lshl_u32 v43, v20, v37, 2
	ds_bpermute_b32 v20, v43, v19
	v_cmp_le_u32_e32 vcc, v44, v17
	v_add_u32_e32 v48, 16, v32
	v_add_u32_e32 v50, 32, v32
	s_waitcnt lgkmcnt(0)
	v_cndmask_b32_e32 v20, 0, v20, vcc
	v_cmp_gt_u32_e32 vcc, 56, v32
	v_add_u32_e32 v19, v19, v20
	v_cndmask_b32_e64 v20, 0, 1, vcc
	v_lshlrev_b32_e32 v20, 3, v20
	v_add_lshl_u32 v45, v20, v37, 2
	ds_bpermute_b32 v20, v45, v19
	v_cmp_le_u32_e32 vcc, v46, v17
	s_waitcnt lgkmcnt(0)
	v_cndmask_b32_e32 v20, 0, v20, vcc
	v_cmp_gt_u32_e32 vcc, 48, v32
	v_add_u32_e32 v19, v19, v20
	v_cndmask_b32_e64 v20, 0, 1, vcc
	v_lshlrev_b32_e32 v20, 4, v20
	v_add_lshl_u32 v47, v20, v37, 2
	ds_bpermute_b32 v20, v47, v19
	v_cmp_le_u32_e32 vcc, v48, v17
	;; [unrolled: 9-line block ×3, first 2 shown]
	s_waitcnt lgkmcnt(0)
	v_cndmask_b32_e32 v17, 0, v20, vcc
	v_add_u32_e32 v20, v19, v17
	v_mov_b32_e32 v19, 0
	s_branch .LBB38_65
.LBB38_64:                              ;   in Loop: Header=BB38_65 Depth=1
	s_or_b64 exec, exec, s[36:37]
	v_cmp_eq_u16_sdwa s[36:37], v21, v30 src0_sel:BYTE_0 src1_sel:DWORD
	v_and_b32_e32 v24, s37, v23
	v_or_b32_e32 v24, 0x80000000, v24
	ds_bpermute_b32 v51, v40, v20
	v_and_b32_e32 v25, s36, v22
	v_ffbl_b32_e32 v24, v24
	v_add_u32_e32 v24, 32, v24
	v_ffbl_b32_e32 v25, v25
	v_min_u32_e32 v24, v25, v24
	v_cmp_lt_u32_e32 vcc, v32, v24
	s_waitcnt lgkmcnt(0)
	v_cndmask_b32_e32 v25, 0, v51, vcc
	v_add_u32_e32 v20, v25, v20
	ds_bpermute_b32 v25, v41, v20
	v_cmp_le_u32_e32 vcc, v42, v24
	v_subrev_u32_e32 v18, 64, v18
	s_waitcnt lgkmcnt(0)
	v_cndmask_b32_e32 v25, 0, v25, vcc
	v_add_u32_e32 v20, v20, v25
	ds_bpermute_b32 v25, v43, v20
	v_cmp_le_u32_e32 vcc, v44, v24
	s_waitcnt lgkmcnt(0)
	v_cndmask_b32_e32 v25, 0, v25, vcc
	v_add_u32_e32 v20, v20, v25
	ds_bpermute_b32 v25, v45, v20
	v_cmp_le_u32_e32 vcc, v46, v24
	;; [unrolled: 5-line block ×4, first 2 shown]
	s_waitcnt lgkmcnt(0)
	v_cndmask_b32_e32 v24, 0, v25, vcc
	v_add3_u32 v20, v24, v17, v20
.LBB38_65:                              ; =>This Loop Header: Depth=1
                                        ;     Child Loop BB38_68 Depth 2
	v_cmp_ne_u16_sdwa s[36:37], v21, v30 src0_sel:BYTE_0 src1_sel:DWORD
	v_cndmask_b32_e64 v17, 0, 1, s[36:37]
	;;#ASMSTART
	;;#ASMEND
	v_cmp_ne_u32_e32 vcc, 0, v17
	s_cmp_lg_u64 vcc, exec
	v_mov_b32_e32 v17, v20
	s_cbranch_scc1 .LBB38_70
; %bb.66:                               ;   in Loop: Header=BB38_65 Depth=1
	v_lshlrev_b64 v[20:21], 3, v[18:19]
	v_mov_b32_e32 v25, s31
	v_add_co_u32_e32 v24, vcc, s30, v20
	v_addc_co_u32_e32 v25, vcc, v25, v21, vcc
	global_load_dwordx2 v[20:21], v[24:25], off glc
	s_waitcnt vmcnt(0)
	v_cmp_eq_u16_sdwa s[38:39], v21, v19 src0_sel:BYTE_0 src1_sel:DWORD
	s_and_saveexec_b64 s[36:37], s[38:39]
	s_cbranch_execz .LBB38_64
; %bb.67:                               ;   in Loop: Header=BB38_65 Depth=1
	s_mov_b64 s[38:39], 0
.LBB38_68:                              ;   Parent Loop BB38_65 Depth=1
                                        ; =>  This Inner Loop Header: Depth=2
	global_load_dwordx2 v[20:21], v[24:25], off glc
	s_waitcnt vmcnt(0)
	v_cmp_ne_u16_sdwa s[40:41], v21, v19 src0_sel:BYTE_0 src1_sel:DWORD
	s_or_b64 s[38:39], s[40:41], s[38:39]
	s_andn2_b64 exec, exec, s[38:39]
	s_cbranch_execnz .LBB38_68
; %bb.69:                               ;   in Loop: Header=BB38_65 Depth=1
	s_or_b64 exec, exec, s[38:39]
	s_branch .LBB38_64
.LBB38_70:                              ;   in Loop: Header=BB38_65 Depth=1
                                        ; implicit-def: $vgpr20
                                        ; implicit-def: $vgpr21
	s_cbranch_execz .LBB38_65
; %bb.71:
	s_and_saveexec_b64 s[36:37], s[16:17]
	s_cbranch_execz .LBB38_73
; %bb.72:
	s_add_i32 s38, s33, 64
	s_mov_b32 s39, 0
	s_lshl_b64 s[38:39], s[38:39], 3
	s_add_u32 s38, s30, s38
	v_add_u32_e32 v18, v17, v16
	v_mov_b32_e32 v19, 2
	s_addc_u32 s39, s31, s39
	v_mov_b32_e32 v20, 0
	global_store_dwordx2 v20, v[18:19], s[38:39]
	ds_write_b64 v20, v[16:17] offset:5376
.LBB38_73:
	s_or_b64 exec, exec, s[36:37]
	s_and_b64 exec, exec, s[0:1]
	s_cbranch_execz .LBB38_75
; %bb.74:
	v_mov_b32_e32 v16, 0
	ds_write_b32 v16, v17 offset:8
.LBB38_75:
	s_or_b64 exec, exec, s[34:35]
	v_mov_b32_e32 v16, 0
	s_waitcnt lgkmcnt(0)
	s_barrier
	ds_read_b32 v17, v16 offset:8
	v_cndmask_b32_e64 v18, v28, v26, s[16:17]
	v_cndmask_b32_e64 v18, v18, 0, s[0:1]
	s_waitcnt lgkmcnt(0)
	s_barrier
	v_add_u32_e32 v32, v17, v18
	v_add_u32_e32 v30, v32, v27
	ds_read_b64 v[16:17], v16 offset:5376
	v_add_u32_e32 v28, v30, v29
	v_add_u32_e32 v26, v28, v31
	;; [unrolled: 1-line block ×5, first 2 shown]
	s_waitcnt lgkmcnt(0)
	v_readfirstlane_b32 s33, v16
	v_lshrrev_b64 v[18:19], 24, v[8:9]
	s_branch .LBB38_86
.LBB38_76:
                                        ; implicit-def: $vgpr17
                                        ; implicit-def: $sgpr33
                                        ; implicit-def: $vgpr20
                                        ; implicit-def: $vgpr22
                                        ; implicit-def: $vgpr24
                                        ; implicit-def: $vgpr26
                                        ; implicit-def: $vgpr28
                                        ; implicit-def: $vgpr30
                                        ; implicit-def: $vgpr32
	v_lshrrev_b64 v[18:19], 24, v[8:9]
	s_cbranch_execz .LBB38_86
; %bb.77:
	v_mov_b32_dpp v16, v39 row_shr:1 row_mask:0xf bank_mask:0xf
	v_cndmask_b32_e64 v16, v16, 0, s[14:15]
	v_add_u32_e32 v16, v16, v39
	s_nop 1
	v_mov_b32_dpp v17, v16 row_shr:2 row_mask:0xf bank_mask:0xf
	v_cndmask_b32_e64 v17, 0, v17, s[12:13]
	v_add_u32_e32 v16, v16, v17
	s_nop 1
	;; [unrolled: 4-line block ×4, first 2 shown]
	v_mov_b32_dpp v17, v16 row_bcast:15 row_mask:0xf bank_mask:0xf
	v_cndmask_b32_e64 v17, v17, 0, s[4:5]
	v_add_u32_e32 v16, v16, v17
	s_nop 1
	v_mov_b32_dpp v17, v16 row_bcast:31 row_mask:0xf bank_mask:0xf
	v_cndmask_b32_e64 v17, 0, v17, s[2:3]
	v_add_u32_e32 v16, v16, v17
	s_and_saveexec_b64 s[2:3], s[6:7]
	s_cbranch_execz .LBB38_79
; %bb.78:
	v_lshlrev_b32_e32 v17, 2, v38
	ds_write_b32 v17, v16
.LBB38_79:
	s_or_b64 exec, exec, s[2:3]
	v_cmp_gt_u32_e32 vcc, 3, v0
	s_waitcnt lgkmcnt(0)
	s_barrier
	s_and_saveexec_b64 s[2:3], vcc
	s_cbranch_execz .LBB38_81
; %bb.80:
	v_lshlrev_b32_e32 v17, 2, v0
	ds_read_b32 v19, v17
	v_and_b32_e32 v20, 3, v37
	v_cmp_ne_u32_e32 vcc, 0, v20
	s_waitcnt lgkmcnt(0)
	v_mov_b32_dpp v21, v19 row_shr:1 row_mask:0xf bank_mask:0xf
	v_cndmask_b32_e32 v21, 0, v21, vcc
	v_add_u32_e32 v19, v21, v19
	v_cmp_lt_u32_e32 vcc, 1, v20
	s_nop 0
	v_mov_b32_dpp v21, v19 row_shr:2 row_mask:0xf bank_mask:0xf
	v_cndmask_b32_e32 v20, 0, v21, vcc
	v_add_u32_e32 v19, v19, v20
	ds_write_b32 v17, v19
.LBB38_81:
	s_or_b64 exec, exec, s[2:3]
	v_cmp_lt_u32_e32 vcc, 63, v0
	v_mov_b32_e32 v19, 0
	v_mov_b32_e32 v17, 0
	s_waitcnt lgkmcnt(0)
	s_barrier
	s_and_saveexec_b64 s[2:3], vcc
	s_cbranch_execz .LBB38_83
; %bb.82:
	v_lshl_add_u32 v17, v38, 2, -4
	ds_read_b32 v17, v17
.LBB38_83:
	s_or_b64 exec, exec, s[2:3]
	v_add_u32_e32 v20, -1, v37
	v_and_b32_e32 v21, 64, v37
	v_cmp_lt_i32_e32 vcc, v20, v21
	v_cndmask_b32_e32 v20, v20, v37, vcc
	s_waitcnt lgkmcnt(0)
	v_add_u32_e32 v16, v17, v16
	v_lshlrev_b32_e32 v20, 2, v20
	ds_read_b32 v19, v19 offset:8
	ds_bpermute_b32 v16, v20, v16
	s_waitcnt lgkmcnt(1)
	v_readfirstlane_b32 s33, v19
	s_and_saveexec_b64 s[2:3], s[0:1]
	s_cbranch_execz .LBB38_85
; %bb.84:
	v_mov_b32_e32 v19, 0
	v_mov_b32_e32 v20, s33
	;; [unrolled: 1-line block ×3, first 2 shown]
	global_store_dwordx2 v19, v[20:21], s[30:31] offset:512
.LBB38_85:
	s_or_b64 exec, exec, s[2:3]
	v_cmp_eq_u32_e32 vcc, 0, v37
	s_waitcnt lgkmcnt(0)
	v_cndmask_b32_e32 v16, v16, v17, vcc
	v_cndmask_b32_e64 v32, v16, 0, s[0:1]
	v_add_u32_e32 v30, v32, v27
	v_add_u32_e32 v28, v30, v29
	;; [unrolled: 1-line block ×5, first 2 shown]
	v_mov_b32_e32 v17, 0
	v_add_u32_e32 v20, v22, v36
	s_barrier
.LBB38_86:
	s_cmpk_lt_u32 s33, 0xc1
	s_cselect_b64 s[4:5], -1, 0
	v_add_u32_e32 v35, s33, v17
	v_lshrrev_b32_e32 v19, 8, v8
	v_lshrrev_b32_e32 v16, 8, v9
	s_mov_b64 s[6:7], -1
	s_and_b64 vcc, exec, s[4:5]
	v_cmp_lt_u32_e64 s[2:3], v32, v35
	s_cbranch_vccz .LBB38_109
; %bb.87:
	s_lshl_b64 s[6:7], s[18:19], 2
	s_add_u32 s6, s24, s6
	s_addc_u32 s7, s25, s7
	s_or_b64 s[8:9], s[28:29], s[2:3]
	s_and_saveexec_b64 s[2:3], s[8:9]
	s_cbranch_execz .LBB38_90
; %bb.88:
	v_and_b32_e32 v21, 1, v8
	v_cmp_eq_u32_e32 vcc, 1, v21
	s_and_b64 exec, exec, vcc
	s_cbranch_execz .LBB38_90
; %bb.89:
	v_mov_b32_e32 v33, 0
	v_lshlrev_b64 v[36:37], 2, v[32:33]
	v_mov_b32_e32 v21, s7
	v_add_co_u32_e32 v36, vcc, s6, v36
	v_addc_co_u32_e32 v37, vcc, v21, v37, vcc
	global_store_dword v[36:37], v14, off
.LBB38_90:
	s_or_b64 exec, exec, s[2:3]
	v_cmp_lt_u32_e32 vcc, v30, v35
	s_or_b64 s[8:9], s[28:29], vcc
	s_and_saveexec_b64 s[2:3], s[8:9]
	s_cbranch_execz .LBB38_93
; %bb.91:
	v_and_b32_e32 v21, 1, v19
	v_cmp_eq_u32_e32 vcc, 1, v21
	s_and_b64 exec, exec, vcc
	s_cbranch_execz .LBB38_93
; %bb.92:
	v_mov_b32_e32 v31, 0
	v_lshlrev_b64 v[36:37], 2, v[30:31]
	v_mov_b32_e32 v21, s7
	v_add_co_u32_e32 v36, vcc, s6, v36
	v_addc_co_u32_e32 v37, vcc, v21, v37, vcc
	global_store_dword v[36:37], v15, off
.LBB38_93:
	s_or_b64 exec, exec, s[2:3]
	v_cmp_lt_u32_e32 vcc, v28, v35
	s_or_b64 s[8:9], s[28:29], vcc
	s_and_saveexec_b64 s[2:3], s[8:9]
	s_cbranch_execz .LBB38_96
; %bb.94:
	v_mov_b32_e32 v21, 1
	v_and_b32_sdwa v21, v21, v8 dst_sel:DWORD dst_unused:UNUSED_PAD src0_sel:DWORD src1_sel:WORD_1
	v_cmp_eq_u32_e32 vcc, 1, v21
	s_and_b64 exec, exec, vcc
	s_cbranch_execz .LBB38_96
; %bb.95:
	v_mov_b32_e32 v29, 0
	v_lshlrev_b64 v[36:37], 2, v[28:29]
	v_mov_b32_e32 v21, s7
	v_add_co_u32_e32 v36, vcc, s6, v36
	v_addc_co_u32_e32 v37, vcc, v21, v37, vcc
	global_store_dword v[36:37], v12, off
.LBB38_96:
	s_or_b64 exec, exec, s[2:3]
	v_cmp_lt_u32_e32 vcc, v26, v35
	s_or_b64 s[8:9], s[28:29], vcc
	s_and_saveexec_b64 s[2:3], s[8:9]
	s_cbranch_execz .LBB38_99
; %bb.97:
	v_and_b32_e32 v21, 1, v18
	v_cmp_eq_u32_e32 vcc, 1, v21
	s_and_b64 exec, exec, vcc
	s_cbranch_execz .LBB38_99
; %bb.98:
	v_mov_b32_e32 v27, 0
	v_lshlrev_b64 v[36:37], 2, v[26:27]
	v_mov_b32_e32 v21, s7
	v_add_co_u32_e32 v36, vcc, s6, v36
	v_addc_co_u32_e32 v37, vcc, v21, v37, vcc
	global_store_dword v[36:37], v13, off
.LBB38_99:
	s_or_b64 exec, exec, s[2:3]
	v_cmp_lt_u32_e32 vcc, v24, v35
	s_or_b64 s[8:9], s[28:29], vcc
	s_and_saveexec_b64 s[2:3], s[8:9]
	s_cbranch_execz .LBB38_102
; %bb.100:
	v_and_b32_e32 v21, 1, v9
	v_cmp_eq_u32_e32 vcc, 1, v21
	s_and_b64 exec, exec, vcc
	s_cbranch_execz .LBB38_102
; %bb.101:
	v_mov_b32_e32 v25, 0
	v_lshlrev_b64 v[36:37], 2, v[24:25]
	v_mov_b32_e32 v21, s7
	v_add_co_u32_e32 v36, vcc, s6, v36
	v_addc_co_u32_e32 v37, vcc, v21, v37, vcc
	global_store_dword v[36:37], v10, off
.LBB38_102:
	;; [unrolled: 18-line block ×3, first 2 shown]
	s_or_b64 exec, exec, s[2:3]
	v_cmp_lt_u32_e32 vcc, v20, v35
	s_or_b64 s[8:9], s[28:29], vcc
	s_and_saveexec_b64 s[2:3], s[8:9]
	s_cbranch_execz .LBB38_108
; %bb.106:
	v_mov_b32_e32 v21, 1
	v_and_b32_sdwa v21, v21, v9 dst_sel:DWORD dst_unused:UNUSED_PAD src0_sel:DWORD src1_sel:WORD_1
	v_cmp_eq_u32_e32 vcc, 1, v21
	s_and_b64 exec, exec, vcc
	s_cbranch_execz .LBB38_108
; %bb.107:
	v_mov_b32_e32 v21, 0
	v_lshlrev_b64 v[36:37], 2, v[20:21]
	v_mov_b32_e32 v21, s7
	v_add_co_u32_e32 v36, vcc, s6, v36
	v_addc_co_u32_e32 v37, vcc, v21, v37, vcc
	global_store_dword v[36:37], v34, off
.LBB38_108:
	s_or_b64 exec, exec, s[2:3]
	s_mov_b64 s[6:7], 0
.LBB38_109:
	v_and_b32_e32 v36, 1, v8
	s_and_b64 vcc, exec, s[6:7]
	v_cmp_eq_u32_e64 s[2:3], 1, v36
	s_cbranch_vccz .LBB38_128
; %bb.110:
	s_and_saveexec_b64 s[6:7], s[2:3]
	s_cbranch_execz .LBB38_112
; %bb.111:
	v_sub_u32_e32 v21, v32, v17
	v_lshlrev_b32_e32 v21, 2, v21
	ds_write_b32 v21, v14
.LBB38_112:
	s_or_b64 exec, exec, s[6:7]
	v_and_b32_e32 v14, 1, v19
	v_cmp_eq_u32_e32 vcc, 1, v14
	s_and_saveexec_b64 s[2:3], vcc
	s_cbranch_execz .LBB38_114
; %bb.113:
	v_sub_u32_e32 v14, v30, v17
	v_lshlrev_b32_e32 v14, 2, v14
	ds_write_b32 v14, v15
.LBB38_114:
	s_or_b64 exec, exec, s[2:3]
	v_mov_b32_e32 v14, 1
	v_and_b32_sdwa v14, v14, v8 dst_sel:DWORD dst_unused:UNUSED_PAD src0_sel:DWORD src1_sel:WORD_1
	v_cmp_eq_u32_e32 vcc, 1, v14
	s_and_saveexec_b64 s[2:3], vcc
	s_cbranch_execz .LBB38_116
; %bb.115:
	v_sub_u32_e32 v14, v28, v17
	v_lshlrev_b32_e32 v14, 2, v14
	ds_write_b32 v14, v12
.LBB38_116:
	s_or_b64 exec, exec, s[2:3]
	v_and_b32_e32 v12, 1, v18
	v_cmp_eq_u32_e32 vcc, 1, v12
	s_and_saveexec_b64 s[2:3], vcc
	s_cbranch_execz .LBB38_118
; %bb.117:
	v_sub_u32_e32 v12, v26, v17
	v_lshlrev_b32_e32 v12, 2, v12
	ds_write_b32 v12, v13
.LBB38_118:
	s_or_b64 exec, exec, s[2:3]
	v_and_b32_e32 v12, 1, v9
	;; [unrolled: 10-line block ×3, first 2 shown]
	v_cmp_eq_u32_e32 vcc, 1, v10
	s_and_saveexec_b64 s[2:3], vcc
	s_cbranch_execz .LBB38_122
; %bb.121:
	v_sub_u32_e32 v10, v22, v17
	v_lshlrev_b32_e32 v10, 2, v10
	ds_write_b32 v10, v11
.LBB38_122:
	s_or_b64 exec, exec, s[2:3]
	v_mov_b32_e32 v10, 1
	v_and_b32_sdwa v10, v10, v9 dst_sel:DWORD dst_unused:UNUSED_PAD src0_sel:DWORD src1_sel:WORD_1
	v_cmp_eq_u32_e32 vcc, 1, v10
	s_and_saveexec_b64 s[2:3], vcc
	s_cbranch_execz .LBB38_124
; %bb.123:
	v_sub_u32_e32 v10, v20, v17
	v_lshlrev_b32_e32 v10, 2, v10
	ds_write_b32 v10, v34
.LBB38_124:
	s_or_b64 exec, exec, s[2:3]
	v_cmp_gt_u32_e32 vcc, s33, v0
	s_waitcnt lgkmcnt(0)
	s_barrier
	s_and_saveexec_b64 s[2:3], vcc
	s_cbranch_execz .LBB38_127
; %bb.125:
	s_lshl_b64 s[6:7], s[18:19], 2
	v_mov_b32_e32 v11, 0
	v_mov_b32_e32 v10, v17
	s_add_u32 s6, s24, s6
	s_addc_u32 s7, s25, s7
	v_lshlrev_b64 v[12:13], 2, v[10:11]
	v_mov_b32_e32 v10, s7
	v_add_co_u32_e32 v12, vcc, s6, v12
	v_addc_co_u32_e32 v13, vcc, v10, v13, vcc
	v_lshlrev_b32_e32 v14, 2, v0
	s_mov_b64 s[6:7], 0
	v_mov_b32_e32 v10, v0
.LBB38_126:                             ; =>This Inner Loop Header: Depth=1
	ds_read_b32 v15, v14
	v_lshlrev_b64 v[38:39], 2, v[10:11]
	v_add_co_u32_e32 v38, vcc, v12, v38
	v_add_u32_e32 v10, 0xc0, v10
	v_addc_co_u32_e32 v39, vcc, v13, v39, vcc
	v_cmp_le_u32_e32 vcc, s33, v10
	v_add_u32_e32 v14, 0x300, v14
	s_or_b64 s[6:7], vcc, s[6:7]
	s_waitcnt lgkmcnt(0)
	global_store_dword v[38:39], v15, off
	s_andn2_b64 exec, exec, s[6:7]
	s_cbranch_execnz .LBB38_126
.LBB38_127:
	s_or_b64 exec, exec, s[2:3]
.LBB38_128:
	s_mov_b64 s[2:3], -1
	s_and_b64 vcc, exec, s[4:5]
	s_barrier
	s_cbranch_vccnz .LBB38_132
; %bb.129:
	s_and_b64 vcc, exec, s[2:3]
	s_cbranch_vccnz .LBB38_154
.LBB38_130:
	s_and_b64 s[0:1], s[0:1], s[22:23]
	s_and_saveexec_b64 s[2:3], s[0:1]
	s_cbranch_execnz .LBB38_172
.LBB38_131:
	s_endpgm
.LBB38_132:
	s_lshl_b64 s[2:3], s[18:19], 2
	s_add_u32 s4, s26, s2
	v_cmp_lt_u32_e32 vcc, v32, v35
	s_addc_u32 s5, s27, s3
	s_or_b64 s[6:7], s[28:29], vcc
	s_and_saveexec_b64 s[2:3], s[6:7]
	s_cbranch_execz .LBB38_135
; %bb.133:
	v_cmp_eq_u32_e32 vcc, 1, v36
	s_and_b64 exec, exec, vcc
	s_cbranch_execz .LBB38_135
; %bb.134:
	v_mov_b32_e32 v33, 0
	v_lshlrev_b64 v[10:11], 2, v[32:33]
	v_mov_b32_e32 v12, s5
	v_add_co_u32_e32 v10, vcc, s4, v10
	v_addc_co_u32_e32 v11, vcc, v12, v11, vcc
	global_store_dword v[10:11], v6, off
.LBB38_135:
	s_or_b64 exec, exec, s[2:3]
	v_cmp_lt_u32_e32 vcc, v30, v35
	s_or_b64 s[6:7], s[28:29], vcc
	s_and_saveexec_b64 s[2:3], s[6:7]
	s_cbranch_execz .LBB38_138
; %bb.136:
	v_and_b32_e32 v10, 1, v19
	v_cmp_eq_u32_e32 vcc, 1, v10
	s_and_b64 exec, exec, vcc
	s_cbranch_execz .LBB38_138
; %bb.137:
	v_mov_b32_e32 v31, 0
	v_lshlrev_b64 v[10:11], 2, v[30:31]
	v_mov_b32_e32 v12, s5
	v_add_co_u32_e32 v10, vcc, s4, v10
	v_addc_co_u32_e32 v11, vcc, v12, v11, vcc
	global_store_dword v[10:11], v7, off
.LBB38_138:
	s_or_b64 exec, exec, s[2:3]
	v_cmp_lt_u32_e32 vcc, v28, v35
	s_or_b64 s[6:7], s[28:29], vcc
	s_and_saveexec_b64 s[2:3], s[6:7]
	s_cbranch_execz .LBB38_141
; %bb.139:
	v_mov_b32_e32 v10, 1
	v_and_b32_sdwa v10, v10, v8 dst_sel:DWORD dst_unused:UNUSED_PAD src0_sel:DWORD src1_sel:WORD_1
	v_cmp_eq_u32_e32 vcc, 1, v10
	s_and_b64 exec, exec, vcc
	s_cbranch_execz .LBB38_141
; %bb.140:
	v_mov_b32_e32 v29, 0
	v_lshlrev_b64 v[10:11], 2, v[28:29]
	v_mov_b32_e32 v12, s5
	v_add_co_u32_e32 v10, vcc, s4, v10
	v_addc_co_u32_e32 v11, vcc, v12, v11, vcc
	global_store_dword v[10:11], v4, off
.LBB38_141:
	s_or_b64 exec, exec, s[2:3]
	v_cmp_lt_u32_e32 vcc, v26, v35
	s_or_b64 s[6:7], s[28:29], vcc
	s_and_saveexec_b64 s[2:3], s[6:7]
	s_cbranch_execz .LBB38_144
; %bb.142:
	v_and_b32_e32 v10, 1, v18
	v_cmp_eq_u32_e32 vcc, 1, v10
	s_and_b64 exec, exec, vcc
	s_cbranch_execz .LBB38_144
; %bb.143:
	v_mov_b32_e32 v27, 0
	v_lshlrev_b64 v[10:11], 2, v[26:27]
	v_mov_b32_e32 v12, s5
	v_add_co_u32_e32 v10, vcc, s4, v10
	v_addc_co_u32_e32 v11, vcc, v12, v11, vcc
	global_store_dword v[10:11], v5, off
.LBB38_144:
	s_or_b64 exec, exec, s[2:3]
	v_cmp_lt_u32_e32 vcc, v24, v35
	s_or_b64 s[6:7], s[28:29], vcc
	s_and_saveexec_b64 s[2:3], s[6:7]
	s_cbranch_execz .LBB38_147
; %bb.145:
	v_and_b32_e32 v10, 1, v9
	v_cmp_eq_u32_e32 vcc, 1, v10
	s_and_b64 exec, exec, vcc
	s_cbranch_execz .LBB38_147
; %bb.146:
	v_mov_b32_e32 v25, 0
	v_lshlrev_b64 v[10:11], 2, v[24:25]
	v_mov_b32_e32 v12, s5
	v_add_co_u32_e32 v10, vcc, s4, v10
	v_addc_co_u32_e32 v11, vcc, v12, v11, vcc
	global_store_dword v[10:11], v2, off
.LBB38_147:
	;; [unrolled: 18-line block ×3, first 2 shown]
	s_or_b64 exec, exec, s[2:3]
	v_cmp_lt_u32_e32 vcc, v20, v35
	s_or_b64 s[6:7], s[28:29], vcc
	s_and_saveexec_b64 s[2:3], s[6:7]
	s_cbranch_execz .LBB38_153
; %bb.151:
	v_mov_b32_e32 v10, 1
	v_and_b32_sdwa v10, v10, v9 dst_sel:DWORD dst_unused:UNUSED_PAD src0_sel:DWORD src1_sel:WORD_1
	v_cmp_eq_u32_e32 vcc, 1, v10
	s_and_b64 exec, exec, vcc
	s_cbranch_execz .LBB38_153
; %bb.152:
	v_mov_b32_e32 v21, 0
	v_lshlrev_b64 v[10:11], 2, v[20:21]
	v_mov_b32_e32 v12, s5
	v_add_co_u32_e32 v10, vcc, s4, v10
	v_addc_co_u32_e32 v11, vcc, v12, v11, vcc
	global_store_dword v[10:11], v1, off
.LBB38_153:
	s_or_b64 exec, exec, s[2:3]
	s_branch .LBB38_130
.LBB38_154:
	v_cmp_eq_u32_e32 vcc, 1, v36
	s_and_saveexec_b64 s[2:3], vcc
	s_cbranch_execz .LBB38_156
; %bb.155:
	v_sub_u32_e32 v10, v32, v17
	v_lshlrev_b32_e32 v10, 2, v10
	ds_write_b32 v10, v6
.LBB38_156:
	s_or_b64 exec, exec, s[2:3]
	v_and_b32_e32 v6, 1, v19
	v_cmp_eq_u32_e32 vcc, 1, v6
	s_and_saveexec_b64 s[2:3], vcc
	s_cbranch_execz .LBB38_158
; %bb.157:
	v_sub_u32_e32 v6, v30, v17
	v_lshlrev_b32_e32 v6, 2, v6
	ds_write_b32 v6, v7
.LBB38_158:
	s_or_b64 exec, exec, s[2:3]
	v_mov_b32_e32 v6, 1
	v_and_b32_sdwa v6, v6, v8 dst_sel:DWORD dst_unused:UNUSED_PAD src0_sel:DWORD src1_sel:WORD_1
	v_cmp_eq_u32_e32 vcc, 1, v6
	s_and_saveexec_b64 s[2:3], vcc
	s_cbranch_execz .LBB38_160
; %bb.159:
	v_sub_u32_e32 v6, v28, v17
	v_lshlrev_b32_e32 v6, 2, v6
	ds_write_b32 v6, v4
.LBB38_160:
	s_or_b64 exec, exec, s[2:3]
	v_and_b32_e32 v4, 1, v18
	v_cmp_eq_u32_e32 vcc, 1, v4
	s_and_saveexec_b64 s[2:3], vcc
	s_cbranch_execz .LBB38_162
; %bb.161:
	v_sub_u32_e32 v4, v26, v17
	v_lshlrev_b32_e32 v4, 2, v4
	ds_write_b32 v4, v5
.LBB38_162:
	s_or_b64 exec, exec, s[2:3]
	v_and_b32_e32 v4, 1, v9
	;; [unrolled: 10-line block ×3, first 2 shown]
	v_cmp_eq_u32_e32 vcc, 1, v2
	s_and_saveexec_b64 s[2:3], vcc
	s_cbranch_execz .LBB38_166
; %bb.165:
	v_sub_u32_e32 v2, v22, v17
	v_lshlrev_b32_e32 v2, 2, v2
	ds_write_b32 v2, v3
.LBB38_166:
	s_or_b64 exec, exec, s[2:3]
	v_mov_b32_e32 v2, 1
	v_and_b32_sdwa v2, v2, v9 dst_sel:DWORD dst_unused:UNUSED_PAD src0_sel:DWORD src1_sel:WORD_1
	v_cmp_eq_u32_e32 vcc, 1, v2
	s_and_saveexec_b64 s[2:3], vcc
	s_cbranch_execz .LBB38_168
; %bb.167:
	v_sub_u32_e32 v2, v20, v17
	v_lshlrev_b32_e32 v2, 2, v2
	ds_write_b32 v2, v1
.LBB38_168:
	s_or_b64 exec, exec, s[2:3]
	v_cmp_gt_u32_e32 vcc, s33, v0
	s_waitcnt lgkmcnt(0)
	s_barrier
	s_and_saveexec_b64 s[2:3], vcc
	s_cbranch_execz .LBB38_171
; %bb.169:
	v_mov_b32_e32 v1, 0
	s_lshl_b64 s[4:5], s[18:19], 2
	v_mov_b32_e32 v2, v17
	v_mov_b32_e32 v3, v1
	s_add_u32 s4, s26, s4
	s_addc_u32 s5, s27, s5
	v_lshlrev_b64 v[2:3], 2, v[2:3]
	v_mov_b32_e32 v4, s5
	v_add_co_u32_e32 v2, vcc, s4, v2
	v_addc_co_u32_e32 v3, vcc, v4, v3, vcc
	v_lshlrev_b32_e32 v4, 2, v0
	s_mov_b64 s[4:5], 0
.LBB38_170:                             ; =>This Inner Loop Header: Depth=1
	ds_read_b32 v5, v4
	v_lshlrev_b64 v[6:7], 2, v[0:1]
	v_add_co_u32_e32 v6, vcc, v2, v6
	v_add_u32_e32 v0, 0xc0, v0
	v_addc_co_u32_e32 v7, vcc, v3, v7, vcc
	v_cmp_le_u32_e32 vcc, s33, v0
	v_add_u32_e32 v4, 0x300, v4
	s_or_b64 s[4:5], vcc, s[4:5]
	s_waitcnt lgkmcnt(0)
	global_store_dword v[6:7], v5, off
	s_andn2_b64 exec, exec, s[4:5]
	s_cbranch_execnz .LBB38_170
.LBB38_171:
	s_or_b64 exec, exec, s[2:3]
	s_and_b64 s[0:1], s[0:1], s[22:23]
	s_and_saveexec_b64 s[2:3], s[0:1]
	s_cbranch_execz .LBB38_131
.LBB38_172:
	s_add_u32 s0, s18, s33
	s_addc_u32 s1, s19, 0
	v_mov_b32_e32 v1, s1
	v_add_co_u32_e32 v0, vcc, s0, v17
	v_mov_b32_e32 v2, 0
	v_addc_co_u32_e32 v1, vcc, 0, v1, vcc
	global_store_dwordx2 v2, v[0:1], s[20:21]
	s_endpgm
.LBB38_173:
	s_or_b64 exec, exec, s[6:7]
	s_and_saveexec_b64 s[2:3], s[36:37]
	s_cbranch_execnz .LBB38_46
	s_branch .LBB38_47
	.section	.rodata,"a",@progbits
	.p2align	6, 0x0
	.amdhsa_kernel _ZN7rocprim17ROCPRIM_400000_NS6detail17trampoline_kernelINS0_14default_configENS1_25partition_config_selectorILNS1_17partition_subalgoE9EiibEEZZNS1_14partition_implILS5_9ELb0ES3_jPKiN6thrust23THRUST_200600_302600_NS17counting_iteratorIiNSB_11use_defaultESD_SD_EEPNS0_10empty_typeENS0_5tupleIJPiSF_EEENSH_IJSI_SG_EEENS0_18inequality_wrapperIN6hipcub16HIPCUB_304000_NS8EqualityEEEPlJSF_EEE10hipError_tPvRmT3_T4_T5_T6_T7_T9_mT8_P12ihipStream_tbDpT10_ENKUlT_T0_E_clISt17integral_constantIbLb0EES19_IbLb1EEEEDaS15_S16_EUlS15_E_NS1_11comp_targetILNS1_3genE4ELNS1_11target_archE910ELNS1_3gpuE8ELNS1_3repE0EEENS1_30default_config_static_selectorELNS0_4arch9wavefront6targetE1EEEvT1_
		.amdhsa_group_segment_fixed_size 5384
		.amdhsa_private_segment_fixed_size 0
		.amdhsa_kernarg_size 128
		.amdhsa_user_sgpr_count 6
		.amdhsa_user_sgpr_private_segment_buffer 1
		.amdhsa_user_sgpr_dispatch_ptr 0
		.amdhsa_user_sgpr_queue_ptr 0
		.amdhsa_user_sgpr_kernarg_segment_ptr 1
		.amdhsa_user_sgpr_dispatch_id 0
		.amdhsa_user_sgpr_flat_scratch_init 0
		.amdhsa_user_sgpr_kernarg_preload_length 0
		.amdhsa_user_sgpr_kernarg_preload_offset 0
		.amdhsa_user_sgpr_private_segment_size 0
		.amdhsa_uses_dynamic_stack 0
		.amdhsa_system_sgpr_private_segment_wavefront_offset 0
		.amdhsa_system_sgpr_workgroup_id_x 1
		.amdhsa_system_sgpr_workgroup_id_y 0
		.amdhsa_system_sgpr_workgroup_id_z 0
		.amdhsa_system_sgpr_workgroup_info 0
		.amdhsa_system_vgpr_workitem_id 0
		.amdhsa_next_free_vgpr 52
		.amdhsa_next_free_sgpr 42
		.amdhsa_accum_offset 52
		.amdhsa_reserve_vcc 1
		.amdhsa_reserve_flat_scratch 0
		.amdhsa_float_round_mode_32 0
		.amdhsa_float_round_mode_16_64 0
		.amdhsa_float_denorm_mode_32 3
		.amdhsa_float_denorm_mode_16_64 3
		.amdhsa_dx10_clamp 1
		.amdhsa_ieee_mode 1
		.amdhsa_fp16_overflow 0
		.amdhsa_tg_split 0
		.amdhsa_exception_fp_ieee_invalid_op 0
		.amdhsa_exception_fp_denorm_src 0
		.amdhsa_exception_fp_ieee_div_zero 0
		.amdhsa_exception_fp_ieee_overflow 0
		.amdhsa_exception_fp_ieee_underflow 0
		.amdhsa_exception_fp_ieee_inexact 0
		.amdhsa_exception_int_div_zero 0
	.end_amdhsa_kernel
	.section	.text._ZN7rocprim17ROCPRIM_400000_NS6detail17trampoline_kernelINS0_14default_configENS1_25partition_config_selectorILNS1_17partition_subalgoE9EiibEEZZNS1_14partition_implILS5_9ELb0ES3_jPKiN6thrust23THRUST_200600_302600_NS17counting_iteratorIiNSB_11use_defaultESD_SD_EEPNS0_10empty_typeENS0_5tupleIJPiSF_EEENSH_IJSI_SG_EEENS0_18inequality_wrapperIN6hipcub16HIPCUB_304000_NS8EqualityEEEPlJSF_EEE10hipError_tPvRmT3_T4_T5_T6_T7_T9_mT8_P12ihipStream_tbDpT10_ENKUlT_T0_E_clISt17integral_constantIbLb0EES19_IbLb1EEEEDaS15_S16_EUlS15_E_NS1_11comp_targetILNS1_3genE4ELNS1_11target_archE910ELNS1_3gpuE8ELNS1_3repE0EEENS1_30default_config_static_selectorELNS0_4arch9wavefront6targetE1EEEvT1_,"axG",@progbits,_ZN7rocprim17ROCPRIM_400000_NS6detail17trampoline_kernelINS0_14default_configENS1_25partition_config_selectorILNS1_17partition_subalgoE9EiibEEZZNS1_14partition_implILS5_9ELb0ES3_jPKiN6thrust23THRUST_200600_302600_NS17counting_iteratorIiNSB_11use_defaultESD_SD_EEPNS0_10empty_typeENS0_5tupleIJPiSF_EEENSH_IJSI_SG_EEENS0_18inequality_wrapperIN6hipcub16HIPCUB_304000_NS8EqualityEEEPlJSF_EEE10hipError_tPvRmT3_T4_T5_T6_T7_T9_mT8_P12ihipStream_tbDpT10_ENKUlT_T0_E_clISt17integral_constantIbLb0EES19_IbLb1EEEEDaS15_S16_EUlS15_E_NS1_11comp_targetILNS1_3genE4ELNS1_11target_archE910ELNS1_3gpuE8ELNS1_3repE0EEENS1_30default_config_static_selectorELNS0_4arch9wavefront6targetE1EEEvT1_,comdat
.Lfunc_end38:
	.size	_ZN7rocprim17ROCPRIM_400000_NS6detail17trampoline_kernelINS0_14default_configENS1_25partition_config_selectorILNS1_17partition_subalgoE9EiibEEZZNS1_14partition_implILS5_9ELb0ES3_jPKiN6thrust23THRUST_200600_302600_NS17counting_iteratorIiNSB_11use_defaultESD_SD_EEPNS0_10empty_typeENS0_5tupleIJPiSF_EEENSH_IJSI_SG_EEENS0_18inequality_wrapperIN6hipcub16HIPCUB_304000_NS8EqualityEEEPlJSF_EEE10hipError_tPvRmT3_T4_T5_T6_T7_T9_mT8_P12ihipStream_tbDpT10_ENKUlT_T0_E_clISt17integral_constantIbLb0EES19_IbLb1EEEEDaS15_S16_EUlS15_E_NS1_11comp_targetILNS1_3genE4ELNS1_11target_archE910ELNS1_3gpuE8ELNS1_3repE0EEENS1_30default_config_static_selectorELNS0_4arch9wavefront6targetE1EEEvT1_, .Lfunc_end38-_ZN7rocprim17ROCPRIM_400000_NS6detail17trampoline_kernelINS0_14default_configENS1_25partition_config_selectorILNS1_17partition_subalgoE9EiibEEZZNS1_14partition_implILS5_9ELb0ES3_jPKiN6thrust23THRUST_200600_302600_NS17counting_iteratorIiNSB_11use_defaultESD_SD_EEPNS0_10empty_typeENS0_5tupleIJPiSF_EEENSH_IJSI_SG_EEENS0_18inequality_wrapperIN6hipcub16HIPCUB_304000_NS8EqualityEEEPlJSF_EEE10hipError_tPvRmT3_T4_T5_T6_T7_T9_mT8_P12ihipStream_tbDpT10_ENKUlT_T0_E_clISt17integral_constantIbLb0EES19_IbLb1EEEEDaS15_S16_EUlS15_E_NS1_11comp_targetILNS1_3genE4ELNS1_11target_archE910ELNS1_3gpuE8ELNS1_3repE0EEENS1_30default_config_static_selectorELNS0_4arch9wavefront6targetE1EEEvT1_
                                        ; -- End function
	.section	.AMDGPU.csdata,"",@progbits
; Kernel info:
; codeLenInByte = 6520
; NumSgprs: 46
; NumVgprs: 52
; NumAgprs: 0
; TotalNumVgprs: 52
; ScratchSize: 0
; MemoryBound: 0
; FloatMode: 240
; IeeeMode: 1
; LDSByteSize: 5384 bytes/workgroup (compile time only)
; SGPRBlocks: 5
; VGPRBlocks: 6
; NumSGPRsForWavesPerEU: 46
; NumVGPRsForWavesPerEU: 52
; AccumOffset: 52
; Occupancy: 8
; WaveLimiterHint : 1
; COMPUTE_PGM_RSRC2:SCRATCH_EN: 0
; COMPUTE_PGM_RSRC2:USER_SGPR: 6
; COMPUTE_PGM_RSRC2:TRAP_HANDLER: 0
; COMPUTE_PGM_RSRC2:TGID_X_EN: 1
; COMPUTE_PGM_RSRC2:TGID_Y_EN: 0
; COMPUTE_PGM_RSRC2:TGID_Z_EN: 0
; COMPUTE_PGM_RSRC2:TIDIG_COMP_CNT: 0
; COMPUTE_PGM_RSRC3_GFX90A:ACCUM_OFFSET: 12
; COMPUTE_PGM_RSRC3_GFX90A:TG_SPLIT: 0
	.section	.text._ZN7rocprim17ROCPRIM_400000_NS6detail17trampoline_kernelINS0_14default_configENS1_25partition_config_selectorILNS1_17partition_subalgoE9EiibEEZZNS1_14partition_implILS5_9ELb0ES3_jPKiN6thrust23THRUST_200600_302600_NS17counting_iteratorIiNSB_11use_defaultESD_SD_EEPNS0_10empty_typeENS0_5tupleIJPiSF_EEENSH_IJSI_SG_EEENS0_18inequality_wrapperIN6hipcub16HIPCUB_304000_NS8EqualityEEEPlJSF_EEE10hipError_tPvRmT3_T4_T5_T6_T7_T9_mT8_P12ihipStream_tbDpT10_ENKUlT_T0_E_clISt17integral_constantIbLb0EES19_IbLb1EEEEDaS15_S16_EUlS15_E_NS1_11comp_targetILNS1_3genE3ELNS1_11target_archE908ELNS1_3gpuE7ELNS1_3repE0EEENS1_30default_config_static_selectorELNS0_4arch9wavefront6targetE1EEEvT1_,"axG",@progbits,_ZN7rocprim17ROCPRIM_400000_NS6detail17trampoline_kernelINS0_14default_configENS1_25partition_config_selectorILNS1_17partition_subalgoE9EiibEEZZNS1_14partition_implILS5_9ELb0ES3_jPKiN6thrust23THRUST_200600_302600_NS17counting_iteratorIiNSB_11use_defaultESD_SD_EEPNS0_10empty_typeENS0_5tupleIJPiSF_EEENSH_IJSI_SG_EEENS0_18inequality_wrapperIN6hipcub16HIPCUB_304000_NS8EqualityEEEPlJSF_EEE10hipError_tPvRmT3_T4_T5_T6_T7_T9_mT8_P12ihipStream_tbDpT10_ENKUlT_T0_E_clISt17integral_constantIbLb0EES19_IbLb1EEEEDaS15_S16_EUlS15_E_NS1_11comp_targetILNS1_3genE3ELNS1_11target_archE908ELNS1_3gpuE7ELNS1_3repE0EEENS1_30default_config_static_selectorELNS0_4arch9wavefront6targetE1EEEvT1_,comdat
	.protected	_ZN7rocprim17ROCPRIM_400000_NS6detail17trampoline_kernelINS0_14default_configENS1_25partition_config_selectorILNS1_17partition_subalgoE9EiibEEZZNS1_14partition_implILS5_9ELb0ES3_jPKiN6thrust23THRUST_200600_302600_NS17counting_iteratorIiNSB_11use_defaultESD_SD_EEPNS0_10empty_typeENS0_5tupleIJPiSF_EEENSH_IJSI_SG_EEENS0_18inequality_wrapperIN6hipcub16HIPCUB_304000_NS8EqualityEEEPlJSF_EEE10hipError_tPvRmT3_T4_T5_T6_T7_T9_mT8_P12ihipStream_tbDpT10_ENKUlT_T0_E_clISt17integral_constantIbLb0EES19_IbLb1EEEEDaS15_S16_EUlS15_E_NS1_11comp_targetILNS1_3genE3ELNS1_11target_archE908ELNS1_3gpuE7ELNS1_3repE0EEENS1_30default_config_static_selectorELNS0_4arch9wavefront6targetE1EEEvT1_ ; -- Begin function _ZN7rocprim17ROCPRIM_400000_NS6detail17trampoline_kernelINS0_14default_configENS1_25partition_config_selectorILNS1_17partition_subalgoE9EiibEEZZNS1_14partition_implILS5_9ELb0ES3_jPKiN6thrust23THRUST_200600_302600_NS17counting_iteratorIiNSB_11use_defaultESD_SD_EEPNS0_10empty_typeENS0_5tupleIJPiSF_EEENSH_IJSI_SG_EEENS0_18inequality_wrapperIN6hipcub16HIPCUB_304000_NS8EqualityEEEPlJSF_EEE10hipError_tPvRmT3_T4_T5_T6_T7_T9_mT8_P12ihipStream_tbDpT10_ENKUlT_T0_E_clISt17integral_constantIbLb0EES19_IbLb1EEEEDaS15_S16_EUlS15_E_NS1_11comp_targetILNS1_3genE3ELNS1_11target_archE908ELNS1_3gpuE7ELNS1_3repE0EEENS1_30default_config_static_selectorELNS0_4arch9wavefront6targetE1EEEvT1_
	.globl	_ZN7rocprim17ROCPRIM_400000_NS6detail17trampoline_kernelINS0_14default_configENS1_25partition_config_selectorILNS1_17partition_subalgoE9EiibEEZZNS1_14partition_implILS5_9ELb0ES3_jPKiN6thrust23THRUST_200600_302600_NS17counting_iteratorIiNSB_11use_defaultESD_SD_EEPNS0_10empty_typeENS0_5tupleIJPiSF_EEENSH_IJSI_SG_EEENS0_18inequality_wrapperIN6hipcub16HIPCUB_304000_NS8EqualityEEEPlJSF_EEE10hipError_tPvRmT3_T4_T5_T6_T7_T9_mT8_P12ihipStream_tbDpT10_ENKUlT_T0_E_clISt17integral_constantIbLb0EES19_IbLb1EEEEDaS15_S16_EUlS15_E_NS1_11comp_targetILNS1_3genE3ELNS1_11target_archE908ELNS1_3gpuE7ELNS1_3repE0EEENS1_30default_config_static_selectorELNS0_4arch9wavefront6targetE1EEEvT1_
	.p2align	8
	.type	_ZN7rocprim17ROCPRIM_400000_NS6detail17trampoline_kernelINS0_14default_configENS1_25partition_config_selectorILNS1_17partition_subalgoE9EiibEEZZNS1_14partition_implILS5_9ELb0ES3_jPKiN6thrust23THRUST_200600_302600_NS17counting_iteratorIiNSB_11use_defaultESD_SD_EEPNS0_10empty_typeENS0_5tupleIJPiSF_EEENSH_IJSI_SG_EEENS0_18inequality_wrapperIN6hipcub16HIPCUB_304000_NS8EqualityEEEPlJSF_EEE10hipError_tPvRmT3_T4_T5_T6_T7_T9_mT8_P12ihipStream_tbDpT10_ENKUlT_T0_E_clISt17integral_constantIbLb0EES19_IbLb1EEEEDaS15_S16_EUlS15_E_NS1_11comp_targetILNS1_3genE3ELNS1_11target_archE908ELNS1_3gpuE7ELNS1_3repE0EEENS1_30default_config_static_selectorELNS0_4arch9wavefront6targetE1EEEvT1_,@function
_ZN7rocprim17ROCPRIM_400000_NS6detail17trampoline_kernelINS0_14default_configENS1_25partition_config_selectorILNS1_17partition_subalgoE9EiibEEZZNS1_14partition_implILS5_9ELb0ES3_jPKiN6thrust23THRUST_200600_302600_NS17counting_iteratorIiNSB_11use_defaultESD_SD_EEPNS0_10empty_typeENS0_5tupleIJPiSF_EEENSH_IJSI_SG_EEENS0_18inequality_wrapperIN6hipcub16HIPCUB_304000_NS8EqualityEEEPlJSF_EEE10hipError_tPvRmT3_T4_T5_T6_T7_T9_mT8_P12ihipStream_tbDpT10_ENKUlT_T0_E_clISt17integral_constantIbLb0EES19_IbLb1EEEEDaS15_S16_EUlS15_E_NS1_11comp_targetILNS1_3genE3ELNS1_11target_archE908ELNS1_3gpuE7ELNS1_3repE0EEENS1_30default_config_static_selectorELNS0_4arch9wavefront6targetE1EEEvT1_: ; @_ZN7rocprim17ROCPRIM_400000_NS6detail17trampoline_kernelINS0_14default_configENS1_25partition_config_selectorILNS1_17partition_subalgoE9EiibEEZZNS1_14partition_implILS5_9ELb0ES3_jPKiN6thrust23THRUST_200600_302600_NS17counting_iteratorIiNSB_11use_defaultESD_SD_EEPNS0_10empty_typeENS0_5tupleIJPiSF_EEENSH_IJSI_SG_EEENS0_18inequality_wrapperIN6hipcub16HIPCUB_304000_NS8EqualityEEEPlJSF_EEE10hipError_tPvRmT3_T4_T5_T6_T7_T9_mT8_P12ihipStream_tbDpT10_ENKUlT_T0_E_clISt17integral_constantIbLb0EES19_IbLb1EEEEDaS15_S16_EUlS15_E_NS1_11comp_targetILNS1_3genE3ELNS1_11target_archE908ELNS1_3gpuE7ELNS1_3repE0EEENS1_30default_config_static_selectorELNS0_4arch9wavefront6targetE1EEEvT1_
; %bb.0:
	.section	.rodata,"a",@progbits
	.p2align	6, 0x0
	.amdhsa_kernel _ZN7rocprim17ROCPRIM_400000_NS6detail17trampoline_kernelINS0_14default_configENS1_25partition_config_selectorILNS1_17partition_subalgoE9EiibEEZZNS1_14partition_implILS5_9ELb0ES3_jPKiN6thrust23THRUST_200600_302600_NS17counting_iteratorIiNSB_11use_defaultESD_SD_EEPNS0_10empty_typeENS0_5tupleIJPiSF_EEENSH_IJSI_SG_EEENS0_18inequality_wrapperIN6hipcub16HIPCUB_304000_NS8EqualityEEEPlJSF_EEE10hipError_tPvRmT3_T4_T5_T6_T7_T9_mT8_P12ihipStream_tbDpT10_ENKUlT_T0_E_clISt17integral_constantIbLb0EES19_IbLb1EEEEDaS15_S16_EUlS15_E_NS1_11comp_targetILNS1_3genE3ELNS1_11target_archE908ELNS1_3gpuE7ELNS1_3repE0EEENS1_30default_config_static_selectorELNS0_4arch9wavefront6targetE1EEEvT1_
		.amdhsa_group_segment_fixed_size 0
		.amdhsa_private_segment_fixed_size 0
		.amdhsa_kernarg_size 128
		.amdhsa_user_sgpr_count 6
		.amdhsa_user_sgpr_private_segment_buffer 1
		.amdhsa_user_sgpr_dispatch_ptr 0
		.amdhsa_user_sgpr_queue_ptr 0
		.amdhsa_user_sgpr_kernarg_segment_ptr 1
		.amdhsa_user_sgpr_dispatch_id 0
		.amdhsa_user_sgpr_flat_scratch_init 0
		.amdhsa_user_sgpr_kernarg_preload_length 0
		.amdhsa_user_sgpr_kernarg_preload_offset 0
		.amdhsa_user_sgpr_private_segment_size 0
		.amdhsa_uses_dynamic_stack 0
		.amdhsa_system_sgpr_private_segment_wavefront_offset 0
		.amdhsa_system_sgpr_workgroup_id_x 1
		.amdhsa_system_sgpr_workgroup_id_y 0
		.amdhsa_system_sgpr_workgroup_id_z 0
		.amdhsa_system_sgpr_workgroup_info 0
		.amdhsa_system_vgpr_workitem_id 0
		.amdhsa_next_free_vgpr 1
		.amdhsa_next_free_sgpr 0
		.amdhsa_accum_offset 4
		.amdhsa_reserve_vcc 0
		.amdhsa_reserve_flat_scratch 0
		.amdhsa_float_round_mode_32 0
		.amdhsa_float_round_mode_16_64 0
		.amdhsa_float_denorm_mode_32 3
		.amdhsa_float_denorm_mode_16_64 3
		.amdhsa_dx10_clamp 1
		.amdhsa_ieee_mode 1
		.amdhsa_fp16_overflow 0
		.amdhsa_tg_split 0
		.amdhsa_exception_fp_ieee_invalid_op 0
		.amdhsa_exception_fp_denorm_src 0
		.amdhsa_exception_fp_ieee_div_zero 0
		.amdhsa_exception_fp_ieee_overflow 0
		.amdhsa_exception_fp_ieee_underflow 0
		.amdhsa_exception_fp_ieee_inexact 0
		.amdhsa_exception_int_div_zero 0
	.end_amdhsa_kernel
	.section	.text._ZN7rocprim17ROCPRIM_400000_NS6detail17trampoline_kernelINS0_14default_configENS1_25partition_config_selectorILNS1_17partition_subalgoE9EiibEEZZNS1_14partition_implILS5_9ELb0ES3_jPKiN6thrust23THRUST_200600_302600_NS17counting_iteratorIiNSB_11use_defaultESD_SD_EEPNS0_10empty_typeENS0_5tupleIJPiSF_EEENSH_IJSI_SG_EEENS0_18inequality_wrapperIN6hipcub16HIPCUB_304000_NS8EqualityEEEPlJSF_EEE10hipError_tPvRmT3_T4_T5_T6_T7_T9_mT8_P12ihipStream_tbDpT10_ENKUlT_T0_E_clISt17integral_constantIbLb0EES19_IbLb1EEEEDaS15_S16_EUlS15_E_NS1_11comp_targetILNS1_3genE3ELNS1_11target_archE908ELNS1_3gpuE7ELNS1_3repE0EEENS1_30default_config_static_selectorELNS0_4arch9wavefront6targetE1EEEvT1_,"axG",@progbits,_ZN7rocprim17ROCPRIM_400000_NS6detail17trampoline_kernelINS0_14default_configENS1_25partition_config_selectorILNS1_17partition_subalgoE9EiibEEZZNS1_14partition_implILS5_9ELb0ES3_jPKiN6thrust23THRUST_200600_302600_NS17counting_iteratorIiNSB_11use_defaultESD_SD_EEPNS0_10empty_typeENS0_5tupleIJPiSF_EEENSH_IJSI_SG_EEENS0_18inequality_wrapperIN6hipcub16HIPCUB_304000_NS8EqualityEEEPlJSF_EEE10hipError_tPvRmT3_T4_T5_T6_T7_T9_mT8_P12ihipStream_tbDpT10_ENKUlT_T0_E_clISt17integral_constantIbLb0EES19_IbLb1EEEEDaS15_S16_EUlS15_E_NS1_11comp_targetILNS1_3genE3ELNS1_11target_archE908ELNS1_3gpuE7ELNS1_3repE0EEENS1_30default_config_static_selectorELNS0_4arch9wavefront6targetE1EEEvT1_,comdat
.Lfunc_end39:
	.size	_ZN7rocprim17ROCPRIM_400000_NS6detail17trampoline_kernelINS0_14default_configENS1_25partition_config_selectorILNS1_17partition_subalgoE9EiibEEZZNS1_14partition_implILS5_9ELb0ES3_jPKiN6thrust23THRUST_200600_302600_NS17counting_iteratorIiNSB_11use_defaultESD_SD_EEPNS0_10empty_typeENS0_5tupleIJPiSF_EEENSH_IJSI_SG_EEENS0_18inequality_wrapperIN6hipcub16HIPCUB_304000_NS8EqualityEEEPlJSF_EEE10hipError_tPvRmT3_T4_T5_T6_T7_T9_mT8_P12ihipStream_tbDpT10_ENKUlT_T0_E_clISt17integral_constantIbLb0EES19_IbLb1EEEEDaS15_S16_EUlS15_E_NS1_11comp_targetILNS1_3genE3ELNS1_11target_archE908ELNS1_3gpuE7ELNS1_3repE0EEENS1_30default_config_static_selectorELNS0_4arch9wavefront6targetE1EEEvT1_, .Lfunc_end39-_ZN7rocprim17ROCPRIM_400000_NS6detail17trampoline_kernelINS0_14default_configENS1_25partition_config_selectorILNS1_17partition_subalgoE9EiibEEZZNS1_14partition_implILS5_9ELb0ES3_jPKiN6thrust23THRUST_200600_302600_NS17counting_iteratorIiNSB_11use_defaultESD_SD_EEPNS0_10empty_typeENS0_5tupleIJPiSF_EEENSH_IJSI_SG_EEENS0_18inequality_wrapperIN6hipcub16HIPCUB_304000_NS8EqualityEEEPlJSF_EEE10hipError_tPvRmT3_T4_T5_T6_T7_T9_mT8_P12ihipStream_tbDpT10_ENKUlT_T0_E_clISt17integral_constantIbLb0EES19_IbLb1EEEEDaS15_S16_EUlS15_E_NS1_11comp_targetILNS1_3genE3ELNS1_11target_archE908ELNS1_3gpuE7ELNS1_3repE0EEENS1_30default_config_static_selectorELNS0_4arch9wavefront6targetE1EEEvT1_
                                        ; -- End function
	.section	.AMDGPU.csdata,"",@progbits
; Kernel info:
; codeLenInByte = 0
; NumSgprs: 4
; NumVgprs: 0
; NumAgprs: 0
; TotalNumVgprs: 0
; ScratchSize: 0
; MemoryBound: 0
; FloatMode: 240
; IeeeMode: 1
; LDSByteSize: 0 bytes/workgroup (compile time only)
; SGPRBlocks: 0
; VGPRBlocks: 0
; NumSGPRsForWavesPerEU: 4
; NumVGPRsForWavesPerEU: 1
; AccumOffset: 4
; Occupancy: 8
; WaveLimiterHint : 0
; COMPUTE_PGM_RSRC2:SCRATCH_EN: 0
; COMPUTE_PGM_RSRC2:USER_SGPR: 6
; COMPUTE_PGM_RSRC2:TRAP_HANDLER: 0
; COMPUTE_PGM_RSRC2:TGID_X_EN: 1
; COMPUTE_PGM_RSRC2:TGID_Y_EN: 0
; COMPUTE_PGM_RSRC2:TGID_Z_EN: 0
; COMPUTE_PGM_RSRC2:TIDIG_COMP_CNT: 0
; COMPUTE_PGM_RSRC3_GFX90A:ACCUM_OFFSET: 0
; COMPUTE_PGM_RSRC3_GFX90A:TG_SPLIT: 0
	.section	.text._ZN7rocprim17ROCPRIM_400000_NS6detail17trampoline_kernelINS0_14default_configENS1_25partition_config_selectorILNS1_17partition_subalgoE9EiibEEZZNS1_14partition_implILS5_9ELb0ES3_jPKiN6thrust23THRUST_200600_302600_NS17counting_iteratorIiNSB_11use_defaultESD_SD_EEPNS0_10empty_typeENS0_5tupleIJPiSF_EEENSH_IJSI_SG_EEENS0_18inequality_wrapperIN6hipcub16HIPCUB_304000_NS8EqualityEEEPlJSF_EEE10hipError_tPvRmT3_T4_T5_T6_T7_T9_mT8_P12ihipStream_tbDpT10_ENKUlT_T0_E_clISt17integral_constantIbLb0EES19_IbLb1EEEEDaS15_S16_EUlS15_E_NS1_11comp_targetILNS1_3genE2ELNS1_11target_archE906ELNS1_3gpuE6ELNS1_3repE0EEENS1_30default_config_static_selectorELNS0_4arch9wavefront6targetE1EEEvT1_,"axG",@progbits,_ZN7rocprim17ROCPRIM_400000_NS6detail17trampoline_kernelINS0_14default_configENS1_25partition_config_selectorILNS1_17partition_subalgoE9EiibEEZZNS1_14partition_implILS5_9ELb0ES3_jPKiN6thrust23THRUST_200600_302600_NS17counting_iteratorIiNSB_11use_defaultESD_SD_EEPNS0_10empty_typeENS0_5tupleIJPiSF_EEENSH_IJSI_SG_EEENS0_18inequality_wrapperIN6hipcub16HIPCUB_304000_NS8EqualityEEEPlJSF_EEE10hipError_tPvRmT3_T4_T5_T6_T7_T9_mT8_P12ihipStream_tbDpT10_ENKUlT_T0_E_clISt17integral_constantIbLb0EES19_IbLb1EEEEDaS15_S16_EUlS15_E_NS1_11comp_targetILNS1_3genE2ELNS1_11target_archE906ELNS1_3gpuE6ELNS1_3repE0EEENS1_30default_config_static_selectorELNS0_4arch9wavefront6targetE1EEEvT1_,comdat
	.protected	_ZN7rocprim17ROCPRIM_400000_NS6detail17trampoline_kernelINS0_14default_configENS1_25partition_config_selectorILNS1_17partition_subalgoE9EiibEEZZNS1_14partition_implILS5_9ELb0ES3_jPKiN6thrust23THRUST_200600_302600_NS17counting_iteratorIiNSB_11use_defaultESD_SD_EEPNS0_10empty_typeENS0_5tupleIJPiSF_EEENSH_IJSI_SG_EEENS0_18inequality_wrapperIN6hipcub16HIPCUB_304000_NS8EqualityEEEPlJSF_EEE10hipError_tPvRmT3_T4_T5_T6_T7_T9_mT8_P12ihipStream_tbDpT10_ENKUlT_T0_E_clISt17integral_constantIbLb0EES19_IbLb1EEEEDaS15_S16_EUlS15_E_NS1_11comp_targetILNS1_3genE2ELNS1_11target_archE906ELNS1_3gpuE6ELNS1_3repE0EEENS1_30default_config_static_selectorELNS0_4arch9wavefront6targetE1EEEvT1_ ; -- Begin function _ZN7rocprim17ROCPRIM_400000_NS6detail17trampoline_kernelINS0_14default_configENS1_25partition_config_selectorILNS1_17partition_subalgoE9EiibEEZZNS1_14partition_implILS5_9ELb0ES3_jPKiN6thrust23THRUST_200600_302600_NS17counting_iteratorIiNSB_11use_defaultESD_SD_EEPNS0_10empty_typeENS0_5tupleIJPiSF_EEENSH_IJSI_SG_EEENS0_18inequality_wrapperIN6hipcub16HIPCUB_304000_NS8EqualityEEEPlJSF_EEE10hipError_tPvRmT3_T4_T5_T6_T7_T9_mT8_P12ihipStream_tbDpT10_ENKUlT_T0_E_clISt17integral_constantIbLb0EES19_IbLb1EEEEDaS15_S16_EUlS15_E_NS1_11comp_targetILNS1_3genE2ELNS1_11target_archE906ELNS1_3gpuE6ELNS1_3repE0EEENS1_30default_config_static_selectorELNS0_4arch9wavefront6targetE1EEEvT1_
	.globl	_ZN7rocprim17ROCPRIM_400000_NS6detail17trampoline_kernelINS0_14default_configENS1_25partition_config_selectorILNS1_17partition_subalgoE9EiibEEZZNS1_14partition_implILS5_9ELb0ES3_jPKiN6thrust23THRUST_200600_302600_NS17counting_iteratorIiNSB_11use_defaultESD_SD_EEPNS0_10empty_typeENS0_5tupleIJPiSF_EEENSH_IJSI_SG_EEENS0_18inequality_wrapperIN6hipcub16HIPCUB_304000_NS8EqualityEEEPlJSF_EEE10hipError_tPvRmT3_T4_T5_T6_T7_T9_mT8_P12ihipStream_tbDpT10_ENKUlT_T0_E_clISt17integral_constantIbLb0EES19_IbLb1EEEEDaS15_S16_EUlS15_E_NS1_11comp_targetILNS1_3genE2ELNS1_11target_archE906ELNS1_3gpuE6ELNS1_3repE0EEENS1_30default_config_static_selectorELNS0_4arch9wavefront6targetE1EEEvT1_
	.p2align	8
	.type	_ZN7rocprim17ROCPRIM_400000_NS6detail17trampoline_kernelINS0_14default_configENS1_25partition_config_selectorILNS1_17partition_subalgoE9EiibEEZZNS1_14partition_implILS5_9ELb0ES3_jPKiN6thrust23THRUST_200600_302600_NS17counting_iteratorIiNSB_11use_defaultESD_SD_EEPNS0_10empty_typeENS0_5tupleIJPiSF_EEENSH_IJSI_SG_EEENS0_18inequality_wrapperIN6hipcub16HIPCUB_304000_NS8EqualityEEEPlJSF_EEE10hipError_tPvRmT3_T4_T5_T6_T7_T9_mT8_P12ihipStream_tbDpT10_ENKUlT_T0_E_clISt17integral_constantIbLb0EES19_IbLb1EEEEDaS15_S16_EUlS15_E_NS1_11comp_targetILNS1_3genE2ELNS1_11target_archE906ELNS1_3gpuE6ELNS1_3repE0EEENS1_30default_config_static_selectorELNS0_4arch9wavefront6targetE1EEEvT1_,@function
_ZN7rocprim17ROCPRIM_400000_NS6detail17trampoline_kernelINS0_14default_configENS1_25partition_config_selectorILNS1_17partition_subalgoE9EiibEEZZNS1_14partition_implILS5_9ELb0ES3_jPKiN6thrust23THRUST_200600_302600_NS17counting_iteratorIiNSB_11use_defaultESD_SD_EEPNS0_10empty_typeENS0_5tupleIJPiSF_EEENSH_IJSI_SG_EEENS0_18inequality_wrapperIN6hipcub16HIPCUB_304000_NS8EqualityEEEPlJSF_EEE10hipError_tPvRmT3_T4_T5_T6_T7_T9_mT8_P12ihipStream_tbDpT10_ENKUlT_T0_E_clISt17integral_constantIbLb0EES19_IbLb1EEEEDaS15_S16_EUlS15_E_NS1_11comp_targetILNS1_3genE2ELNS1_11target_archE906ELNS1_3gpuE6ELNS1_3repE0EEENS1_30default_config_static_selectorELNS0_4arch9wavefront6targetE1EEEvT1_: ; @_ZN7rocprim17ROCPRIM_400000_NS6detail17trampoline_kernelINS0_14default_configENS1_25partition_config_selectorILNS1_17partition_subalgoE9EiibEEZZNS1_14partition_implILS5_9ELb0ES3_jPKiN6thrust23THRUST_200600_302600_NS17counting_iteratorIiNSB_11use_defaultESD_SD_EEPNS0_10empty_typeENS0_5tupleIJPiSF_EEENSH_IJSI_SG_EEENS0_18inequality_wrapperIN6hipcub16HIPCUB_304000_NS8EqualityEEEPlJSF_EEE10hipError_tPvRmT3_T4_T5_T6_T7_T9_mT8_P12ihipStream_tbDpT10_ENKUlT_T0_E_clISt17integral_constantIbLb0EES19_IbLb1EEEEDaS15_S16_EUlS15_E_NS1_11comp_targetILNS1_3genE2ELNS1_11target_archE906ELNS1_3gpuE6ELNS1_3repE0EEENS1_30default_config_static_selectorELNS0_4arch9wavefront6targetE1EEEvT1_
; %bb.0:
	.section	.rodata,"a",@progbits
	.p2align	6, 0x0
	.amdhsa_kernel _ZN7rocprim17ROCPRIM_400000_NS6detail17trampoline_kernelINS0_14default_configENS1_25partition_config_selectorILNS1_17partition_subalgoE9EiibEEZZNS1_14partition_implILS5_9ELb0ES3_jPKiN6thrust23THRUST_200600_302600_NS17counting_iteratorIiNSB_11use_defaultESD_SD_EEPNS0_10empty_typeENS0_5tupleIJPiSF_EEENSH_IJSI_SG_EEENS0_18inequality_wrapperIN6hipcub16HIPCUB_304000_NS8EqualityEEEPlJSF_EEE10hipError_tPvRmT3_T4_T5_T6_T7_T9_mT8_P12ihipStream_tbDpT10_ENKUlT_T0_E_clISt17integral_constantIbLb0EES19_IbLb1EEEEDaS15_S16_EUlS15_E_NS1_11comp_targetILNS1_3genE2ELNS1_11target_archE906ELNS1_3gpuE6ELNS1_3repE0EEENS1_30default_config_static_selectorELNS0_4arch9wavefront6targetE1EEEvT1_
		.amdhsa_group_segment_fixed_size 0
		.amdhsa_private_segment_fixed_size 0
		.amdhsa_kernarg_size 128
		.amdhsa_user_sgpr_count 6
		.amdhsa_user_sgpr_private_segment_buffer 1
		.amdhsa_user_sgpr_dispatch_ptr 0
		.amdhsa_user_sgpr_queue_ptr 0
		.amdhsa_user_sgpr_kernarg_segment_ptr 1
		.amdhsa_user_sgpr_dispatch_id 0
		.amdhsa_user_sgpr_flat_scratch_init 0
		.amdhsa_user_sgpr_kernarg_preload_length 0
		.amdhsa_user_sgpr_kernarg_preload_offset 0
		.amdhsa_user_sgpr_private_segment_size 0
		.amdhsa_uses_dynamic_stack 0
		.amdhsa_system_sgpr_private_segment_wavefront_offset 0
		.amdhsa_system_sgpr_workgroup_id_x 1
		.amdhsa_system_sgpr_workgroup_id_y 0
		.amdhsa_system_sgpr_workgroup_id_z 0
		.amdhsa_system_sgpr_workgroup_info 0
		.amdhsa_system_vgpr_workitem_id 0
		.amdhsa_next_free_vgpr 1
		.amdhsa_next_free_sgpr 0
		.amdhsa_accum_offset 4
		.amdhsa_reserve_vcc 0
		.amdhsa_reserve_flat_scratch 0
		.amdhsa_float_round_mode_32 0
		.amdhsa_float_round_mode_16_64 0
		.amdhsa_float_denorm_mode_32 3
		.amdhsa_float_denorm_mode_16_64 3
		.amdhsa_dx10_clamp 1
		.amdhsa_ieee_mode 1
		.amdhsa_fp16_overflow 0
		.amdhsa_tg_split 0
		.amdhsa_exception_fp_ieee_invalid_op 0
		.amdhsa_exception_fp_denorm_src 0
		.amdhsa_exception_fp_ieee_div_zero 0
		.amdhsa_exception_fp_ieee_overflow 0
		.amdhsa_exception_fp_ieee_underflow 0
		.amdhsa_exception_fp_ieee_inexact 0
		.amdhsa_exception_int_div_zero 0
	.end_amdhsa_kernel
	.section	.text._ZN7rocprim17ROCPRIM_400000_NS6detail17trampoline_kernelINS0_14default_configENS1_25partition_config_selectorILNS1_17partition_subalgoE9EiibEEZZNS1_14partition_implILS5_9ELb0ES3_jPKiN6thrust23THRUST_200600_302600_NS17counting_iteratorIiNSB_11use_defaultESD_SD_EEPNS0_10empty_typeENS0_5tupleIJPiSF_EEENSH_IJSI_SG_EEENS0_18inequality_wrapperIN6hipcub16HIPCUB_304000_NS8EqualityEEEPlJSF_EEE10hipError_tPvRmT3_T4_T5_T6_T7_T9_mT8_P12ihipStream_tbDpT10_ENKUlT_T0_E_clISt17integral_constantIbLb0EES19_IbLb1EEEEDaS15_S16_EUlS15_E_NS1_11comp_targetILNS1_3genE2ELNS1_11target_archE906ELNS1_3gpuE6ELNS1_3repE0EEENS1_30default_config_static_selectorELNS0_4arch9wavefront6targetE1EEEvT1_,"axG",@progbits,_ZN7rocprim17ROCPRIM_400000_NS6detail17trampoline_kernelINS0_14default_configENS1_25partition_config_selectorILNS1_17partition_subalgoE9EiibEEZZNS1_14partition_implILS5_9ELb0ES3_jPKiN6thrust23THRUST_200600_302600_NS17counting_iteratorIiNSB_11use_defaultESD_SD_EEPNS0_10empty_typeENS0_5tupleIJPiSF_EEENSH_IJSI_SG_EEENS0_18inequality_wrapperIN6hipcub16HIPCUB_304000_NS8EqualityEEEPlJSF_EEE10hipError_tPvRmT3_T4_T5_T6_T7_T9_mT8_P12ihipStream_tbDpT10_ENKUlT_T0_E_clISt17integral_constantIbLb0EES19_IbLb1EEEEDaS15_S16_EUlS15_E_NS1_11comp_targetILNS1_3genE2ELNS1_11target_archE906ELNS1_3gpuE6ELNS1_3repE0EEENS1_30default_config_static_selectorELNS0_4arch9wavefront6targetE1EEEvT1_,comdat
.Lfunc_end40:
	.size	_ZN7rocprim17ROCPRIM_400000_NS6detail17trampoline_kernelINS0_14default_configENS1_25partition_config_selectorILNS1_17partition_subalgoE9EiibEEZZNS1_14partition_implILS5_9ELb0ES3_jPKiN6thrust23THRUST_200600_302600_NS17counting_iteratorIiNSB_11use_defaultESD_SD_EEPNS0_10empty_typeENS0_5tupleIJPiSF_EEENSH_IJSI_SG_EEENS0_18inequality_wrapperIN6hipcub16HIPCUB_304000_NS8EqualityEEEPlJSF_EEE10hipError_tPvRmT3_T4_T5_T6_T7_T9_mT8_P12ihipStream_tbDpT10_ENKUlT_T0_E_clISt17integral_constantIbLb0EES19_IbLb1EEEEDaS15_S16_EUlS15_E_NS1_11comp_targetILNS1_3genE2ELNS1_11target_archE906ELNS1_3gpuE6ELNS1_3repE0EEENS1_30default_config_static_selectorELNS0_4arch9wavefront6targetE1EEEvT1_, .Lfunc_end40-_ZN7rocprim17ROCPRIM_400000_NS6detail17trampoline_kernelINS0_14default_configENS1_25partition_config_selectorILNS1_17partition_subalgoE9EiibEEZZNS1_14partition_implILS5_9ELb0ES3_jPKiN6thrust23THRUST_200600_302600_NS17counting_iteratorIiNSB_11use_defaultESD_SD_EEPNS0_10empty_typeENS0_5tupleIJPiSF_EEENSH_IJSI_SG_EEENS0_18inequality_wrapperIN6hipcub16HIPCUB_304000_NS8EqualityEEEPlJSF_EEE10hipError_tPvRmT3_T4_T5_T6_T7_T9_mT8_P12ihipStream_tbDpT10_ENKUlT_T0_E_clISt17integral_constantIbLb0EES19_IbLb1EEEEDaS15_S16_EUlS15_E_NS1_11comp_targetILNS1_3genE2ELNS1_11target_archE906ELNS1_3gpuE6ELNS1_3repE0EEENS1_30default_config_static_selectorELNS0_4arch9wavefront6targetE1EEEvT1_
                                        ; -- End function
	.section	.AMDGPU.csdata,"",@progbits
; Kernel info:
; codeLenInByte = 0
; NumSgprs: 4
; NumVgprs: 0
; NumAgprs: 0
; TotalNumVgprs: 0
; ScratchSize: 0
; MemoryBound: 0
; FloatMode: 240
; IeeeMode: 1
; LDSByteSize: 0 bytes/workgroup (compile time only)
; SGPRBlocks: 0
; VGPRBlocks: 0
; NumSGPRsForWavesPerEU: 4
; NumVGPRsForWavesPerEU: 1
; AccumOffset: 4
; Occupancy: 8
; WaveLimiterHint : 0
; COMPUTE_PGM_RSRC2:SCRATCH_EN: 0
; COMPUTE_PGM_RSRC2:USER_SGPR: 6
; COMPUTE_PGM_RSRC2:TRAP_HANDLER: 0
; COMPUTE_PGM_RSRC2:TGID_X_EN: 1
; COMPUTE_PGM_RSRC2:TGID_Y_EN: 0
; COMPUTE_PGM_RSRC2:TGID_Z_EN: 0
; COMPUTE_PGM_RSRC2:TIDIG_COMP_CNT: 0
; COMPUTE_PGM_RSRC3_GFX90A:ACCUM_OFFSET: 0
; COMPUTE_PGM_RSRC3_GFX90A:TG_SPLIT: 0
	.section	.text._ZN7rocprim17ROCPRIM_400000_NS6detail17trampoline_kernelINS0_14default_configENS1_25partition_config_selectorILNS1_17partition_subalgoE9EiibEEZZNS1_14partition_implILS5_9ELb0ES3_jPKiN6thrust23THRUST_200600_302600_NS17counting_iteratorIiNSB_11use_defaultESD_SD_EEPNS0_10empty_typeENS0_5tupleIJPiSF_EEENSH_IJSI_SG_EEENS0_18inequality_wrapperIN6hipcub16HIPCUB_304000_NS8EqualityEEEPlJSF_EEE10hipError_tPvRmT3_T4_T5_T6_T7_T9_mT8_P12ihipStream_tbDpT10_ENKUlT_T0_E_clISt17integral_constantIbLb0EES19_IbLb1EEEEDaS15_S16_EUlS15_E_NS1_11comp_targetILNS1_3genE10ELNS1_11target_archE1200ELNS1_3gpuE4ELNS1_3repE0EEENS1_30default_config_static_selectorELNS0_4arch9wavefront6targetE1EEEvT1_,"axG",@progbits,_ZN7rocprim17ROCPRIM_400000_NS6detail17trampoline_kernelINS0_14default_configENS1_25partition_config_selectorILNS1_17partition_subalgoE9EiibEEZZNS1_14partition_implILS5_9ELb0ES3_jPKiN6thrust23THRUST_200600_302600_NS17counting_iteratorIiNSB_11use_defaultESD_SD_EEPNS0_10empty_typeENS0_5tupleIJPiSF_EEENSH_IJSI_SG_EEENS0_18inequality_wrapperIN6hipcub16HIPCUB_304000_NS8EqualityEEEPlJSF_EEE10hipError_tPvRmT3_T4_T5_T6_T7_T9_mT8_P12ihipStream_tbDpT10_ENKUlT_T0_E_clISt17integral_constantIbLb0EES19_IbLb1EEEEDaS15_S16_EUlS15_E_NS1_11comp_targetILNS1_3genE10ELNS1_11target_archE1200ELNS1_3gpuE4ELNS1_3repE0EEENS1_30default_config_static_selectorELNS0_4arch9wavefront6targetE1EEEvT1_,comdat
	.protected	_ZN7rocprim17ROCPRIM_400000_NS6detail17trampoline_kernelINS0_14default_configENS1_25partition_config_selectorILNS1_17partition_subalgoE9EiibEEZZNS1_14partition_implILS5_9ELb0ES3_jPKiN6thrust23THRUST_200600_302600_NS17counting_iteratorIiNSB_11use_defaultESD_SD_EEPNS0_10empty_typeENS0_5tupleIJPiSF_EEENSH_IJSI_SG_EEENS0_18inequality_wrapperIN6hipcub16HIPCUB_304000_NS8EqualityEEEPlJSF_EEE10hipError_tPvRmT3_T4_T5_T6_T7_T9_mT8_P12ihipStream_tbDpT10_ENKUlT_T0_E_clISt17integral_constantIbLb0EES19_IbLb1EEEEDaS15_S16_EUlS15_E_NS1_11comp_targetILNS1_3genE10ELNS1_11target_archE1200ELNS1_3gpuE4ELNS1_3repE0EEENS1_30default_config_static_selectorELNS0_4arch9wavefront6targetE1EEEvT1_ ; -- Begin function _ZN7rocprim17ROCPRIM_400000_NS6detail17trampoline_kernelINS0_14default_configENS1_25partition_config_selectorILNS1_17partition_subalgoE9EiibEEZZNS1_14partition_implILS5_9ELb0ES3_jPKiN6thrust23THRUST_200600_302600_NS17counting_iteratorIiNSB_11use_defaultESD_SD_EEPNS0_10empty_typeENS0_5tupleIJPiSF_EEENSH_IJSI_SG_EEENS0_18inequality_wrapperIN6hipcub16HIPCUB_304000_NS8EqualityEEEPlJSF_EEE10hipError_tPvRmT3_T4_T5_T6_T7_T9_mT8_P12ihipStream_tbDpT10_ENKUlT_T0_E_clISt17integral_constantIbLb0EES19_IbLb1EEEEDaS15_S16_EUlS15_E_NS1_11comp_targetILNS1_3genE10ELNS1_11target_archE1200ELNS1_3gpuE4ELNS1_3repE0EEENS1_30default_config_static_selectorELNS0_4arch9wavefront6targetE1EEEvT1_
	.globl	_ZN7rocprim17ROCPRIM_400000_NS6detail17trampoline_kernelINS0_14default_configENS1_25partition_config_selectorILNS1_17partition_subalgoE9EiibEEZZNS1_14partition_implILS5_9ELb0ES3_jPKiN6thrust23THRUST_200600_302600_NS17counting_iteratorIiNSB_11use_defaultESD_SD_EEPNS0_10empty_typeENS0_5tupleIJPiSF_EEENSH_IJSI_SG_EEENS0_18inequality_wrapperIN6hipcub16HIPCUB_304000_NS8EqualityEEEPlJSF_EEE10hipError_tPvRmT3_T4_T5_T6_T7_T9_mT8_P12ihipStream_tbDpT10_ENKUlT_T0_E_clISt17integral_constantIbLb0EES19_IbLb1EEEEDaS15_S16_EUlS15_E_NS1_11comp_targetILNS1_3genE10ELNS1_11target_archE1200ELNS1_3gpuE4ELNS1_3repE0EEENS1_30default_config_static_selectorELNS0_4arch9wavefront6targetE1EEEvT1_
	.p2align	8
	.type	_ZN7rocprim17ROCPRIM_400000_NS6detail17trampoline_kernelINS0_14default_configENS1_25partition_config_selectorILNS1_17partition_subalgoE9EiibEEZZNS1_14partition_implILS5_9ELb0ES3_jPKiN6thrust23THRUST_200600_302600_NS17counting_iteratorIiNSB_11use_defaultESD_SD_EEPNS0_10empty_typeENS0_5tupleIJPiSF_EEENSH_IJSI_SG_EEENS0_18inequality_wrapperIN6hipcub16HIPCUB_304000_NS8EqualityEEEPlJSF_EEE10hipError_tPvRmT3_T4_T5_T6_T7_T9_mT8_P12ihipStream_tbDpT10_ENKUlT_T0_E_clISt17integral_constantIbLb0EES19_IbLb1EEEEDaS15_S16_EUlS15_E_NS1_11comp_targetILNS1_3genE10ELNS1_11target_archE1200ELNS1_3gpuE4ELNS1_3repE0EEENS1_30default_config_static_selectorELNS0_4arch9wavefront6targetE1EEEvT1_,@function
_ZN7rocprim17ROCPRIM_400000_NS6detail17trampoline_kernelINS0_14default_configENS1_25partition_config_selectorILNS1_17partition_subalgoE9EiibEEZZNS1_14partition_implILS5_9ELb0ES3_jPKiN6thrust23THRUST_200600_302600_NS17counting_iteratorIiNSB_11use_defaultESD_SD_EEPNS0_10empty_typeENS0_5tupleIJPiSF_EEENSH_IJSI_SG_EEENS0_18inequality_wrapperIN6hipcub16HIPCUB_304000_NS8EqualityEEEPlJSF_EEE10hipError_tPvRmT3_T4_T5_T6_T7_T9_mT8_P12ihipStream_tbDpT10_ENKUlT_T0_E_clISt17integral_constantIbLb0EES19_IbLb1EEEEDaS15_S16_EUlS15_E_NS1_11comp_targetILNS1_3genE10ELNS1_11target_archE1200ELNS1_3gpuE4ELNS1_3repE0EEENS1_30default_config_static_selectorELNS0_4arch9wavefront6targetE1EEEvT1_: ; @_ZN7rocprim17ROCPRIM_400000_NS6detail17trampoline_kernelINS0_14default_configENS1_25partition_config_selectorILNS1_17partition_subalgoE9EiibEEZZNS1_14partition_implILS5_9ELb0ES3_jPKiN6thrust23THRUST_200600_302600_NS17counting_iteratorIiNSB_11use_defaultESD_SD_EEPNS0_10empty_typeENS0_5tupleIJPiSF_EEENSH_IJSI_SG_EEENS0_18inequality_wrapperIN6hipcub16HIPCUB_304000_NS8EqualityEEEPlJSF_EEE10hipError_tPvRmT3_T4_T5_T6_T7_T9_mT8_P12ihipStream_tbDpT10_ENKUlT_T0_E_clISt17integral_constantIbLb0EES19_IbLb1EEEEDaS15_S16_EUlS15_E_NS1_11comp_targetILNS1_3genE10ELNS1_11target_archE1200ELNS1_3gpuE4ELNS1_3repE0EEENS1_30default_config_static_selectorELNS0_4arch9wavefront6targetE1EEEvT1_
; %bb.0:
	.section	.rodata,"a",@progbits
	.p2align	6, 0x0
	.amdhsa_kernel _ZN7rocprim17ROCPRIM_400000_NS6detail17trampoline_kernelINS0_14default_configENS1_25partition_config_selectorILNS1_17partition_subalgoE9EiibEEZZNS1_14partition_implILS5_9ELb0ES3_jPKiN6thrust23THRUST_200600_302600_NS17counting_iteratorIiNSB_11use_defaultESD_SD_EEPNS0_10empty_typeENS0_5tupleIJPiSF_EEENSH_IJSI_SG_EEENS0_18inequality_wrapperIN6hipcub16HIPCUB_304000_NS8EqualityEEEPlJSF_EEE10hipError_tPvRmT3_T4_T5_T6_T7_T9_mT8_P12ihipStream_tbDpT10_ENKUlT_T0_E_clISt17integral_constantIbLb0EES19_IbLb1EEEEDaS15_S16_EUlS15_E_NS1_11comp_targetILNS1_3genE10ELNS1_11target_archE1200ELNS1_3gpuE4ELNS1_3repE0EEENS1_30default_config_static_selectorELNS0_4arch9wavefront6targetE1EEEvT1_
		.amdhsa_group_segment_fixed_size 0
		.amdhsa_private_segment_fixed_size 0
		.amdhsa_kernarg_size 128
		.amdhsa_user_sgpr_count 6
		.amdhsa_user_sgpr_private_segment_buffer 1
		.amdhsa_user_sgpr_dispatch_ptr 0
		.amdhsa_user_sgpr_queue_ptr 0
		.amdhsa_user_sgpr_kernarg_segment_ptr 1
		.amdhsa_user_sgpr_dispatch_id 0
		.amdhsa_user_sgpr_flat_scratch_init 0
		.amdhsa_user_sgpr_kernarg_preload_length 0
		.amdhsa_user_sgpr_kernarg_preload_offset 0
		.amdhsa_user_sgpr_private_segment_size 0
		.amdhsa_uses_dynamic_stack 0
		.amdhsa_system_sgpr_private_segment_wavefront_offset 0
		.amdhsa_system_sgpr_workgroup_id_x 1
		.amdhsa_system_sgpr_workgroup_id_y 0
		.amdhsa_system_sgpr_workgroup_id_z 0
		.amdhsa_system_sgpr_workgroup_info 0
		.amdhsa_system_vgpr_workitem_id 0
		.amdhsa_next_free_vgpr 1
		.amdhsa_next_free_sgpr 0
		.amdhsa_accum_offset 4
		.amdhsa_reserve_vcc 0
		.amdhsa_reserve_flat_scratch 0
		.amdhsa_float_round_mode_32 0
		.amdhsa_float_round_mode_16_64 0
		.amdhsa_float_denorm_mode_32 3
		.amdhsa_float_denorm_mode_16_64 3
		.amdhsa_dx10_clamp 1
		.amdhsa_ieee_mode 1
		.amdhsa_fp16_overflow 0
		.amdhsa_tg_split 0
		.amdhsa_exception_fp_ieee_invalid_op 0
		.amdhsa_exception_fp_denorm_src 0
		.amdhsa_exception_fp_ieee_div_zero 0
		.amdhsa_exception_fp_ieee_overflow 0
		.amdhsa_exception_fp_ieee_underflow 0
		.amdhsa_exception_fp_ieee_inexact 0
		.amdhsa_exception_int_div_zero 0
	.end_amdhsa_kernel
	.section	.text._ZN7rocprim17ROCPRIM_400000_NS6detail17trampoline_kernelINS0_14default_configENS1_25partition_config_selectorILNS1_17partition_subalgoE9EiibEEZZNS1_14partition_implILS5_9ELb0ES3_jPKiN6thrust23THRUST_200600_302600_NS17counting_iteratorIiNSB_11use_defaultESD_SD_EEPNS0_10empty_typeENS0_5tupleIJPiSF_EEENSH_IJSI_SG_EEENS0_18inequality_wrapperIN6hipcub16HIPCUB_304000_NS8EqualityEEEPlJSF_EEE10hipError_tPvRmT3_T4_T5_T6_T7_T9_mT8_P12ihipStream_tbDpT10_ENKUlT_T0_E_clISt17integral_constantIbLb0EES19_IbLb1EEEEDaS15_S16_EUlS15_E_NS1_11comp_targetILNS1_3genE10ELNS1_11target_archE1200ELNS1_3gpuE4ELNS1_3repE0EEENS1_30default_config_static_selectorELNS0_4arch9wavefront6targetE1EEEvT1_,"axG",@progbits,_ZN7rocprim17ROCPRIM_400000_NS6detail17trampoline_kernelINS0_14default_configENS1_25partition_config_selectorILNS1_17partition_subalgoE9EiibEEZZNS1_14partition_implILS5_9ELb0ES3_jPKiN6thrust23THRUST_200600_302600_NS17counting_iteratorIiNSB_11use_defaultESD_SD_EEPNS0_10empty_typeENS0_5tupleIJPiSF_EEENSH_IJSI_SG_EEENS0_18inequality_wrapperIN6hipcub16HIPCUB_304000_NS8EqualityEEEPlJSF_EEE10hipError_tPvRmT3_T4_T5_T6_T7_T9_mT8_P12ihipStream_tbDpT10_ENKUlT_T0_E_clISt17integral_constantIbLb0EES19_IbLb1EEEEDaS15_S16_EUlS15_E_NS1_11comp_targetILNS1_3genE10ELNS1_11target_archE1200ELNS1_3gpuE4ELNS1_3repE0EEENS1_30default_config_static_selectorELNS0_4arch9wavefront6targetE1EEEvT1_,comdat
.Lfunc_end41:
	.size	_ZN7rocprim17ROCPRIM_400000_NS6detail17trampoline_kernelINS0_14default_configENS1_25partition_config_selectorILNS1_17partition_subalgoE9EiibEEZZNS1_14partition_implILS5_9ELb0ES3_jPKiN6thrust23THRUST_200600_302600_NS17counting_iteratorIiNSB_11use_defaultESD_SD_EEPNS0_10empty_typeENS0_5tupleIJPiSF_EEENSH_IJSI_SG_EEENS0_18inequality_wrapperIN6hipcub16HIPCUB_304000_NS8EqualityEEEPlJSF_EEE10hipError_tPvRmT3_T4_T5_T6_T7_T9_mT8_P12ihipStream_tbDpT10_ENKUlT_T0_E_clISt17integral_constantIbLb0EES19_IbLb1EEEEDaS15_S16_EUlS15_E_NS1_11comp_targetILNS1_3genE10ELNS1_11target_archE1200ELNS1_3gpuE4ELNS1_3repE0EEENS1_30default_config_static_selectorELNS0_4arch9wavefront6targetE1EEEvT1_, .Lfunc_end41-_ZN7rocprim17ROCPRIM_400000_NS6detail17trampoline_kernelINS0_14default_configENS1_25partition_config_selectorILNS1_17partition_subalgoE9EiibEEZZNS1_14partition_implILS5_9ELb0ES3_jPKiN6thrust23THRUST_200600_302600_NS17counting_iteratorIiNSB_11use_defaultESD_SD_EEPNS0_10empty_typeENS0_5tupleIJPiSF_EEENSH_IJSI_SG_EEENS0_18inequality_wrapperIN6hipcub16HIPCUB_304000_NS8EqualityEEEPlJSF_EEE10hipError_tPvRmT3_T4_T5_T6_T7_T9_mT8_P12ihipStream_tbDpT10_ENKUlT_T0_E_clISt17integral_constantIbLb0EES19_IbLb1EEEEDaS15_S16_EUlS15_E_NS1_11comp_targetILNS1_3genE10ELNS1_11target_archE1200ELNS1_3gpuE4ELNS1_3repE0EEENS1_30default_config_static_selectorELNS0_4arch9wavefront6targetE1EEEvT1_
                                        ; -- End function
	.section	.AMDGPU.csdata,"",@progbits
; Kernel info:
; codeLenInByte = 0
; NumSgprs: 4
; NumVgprs: 0
; NumAgprs: 0
; TotalNumVgprs: 0
; ScratchSize: 0
; MemoryBound: 0
; FloatMode: 240
; IeeeMode: 1
; LDSByteSize: 0 bytes/workgroup (compile time only)
; SGPRBlocks: 0
; VGPRBlocks: 0
; NumSGPRsForWavesPerEU: 4
; NumVGPRsForWavesPerEU: 1
; AccumOffset: 4
; Occupancy: 8
; WaveLimiterHint : 0
; COMPUTE_PGM_RSRC2:SCRATCH_EN: 0
; COMPUTE_PGM_RSRC2:USER_SGPR: 6
; COMPUTE_PGM_RSRC2:TRAP_HANDLER: 0
; COMPUTE_PGM_RSRC2:TGID_X_EN: 1
; COMPUTE_PGM_RSRC2:TGID_Y_EN: 0
; COMPUTE_PGM_RSRC2:TGID_Z_EN: 0
; COMPUTE_PGM_RSRC2:TIDIG_COMP_CNT: 0
; COMPUTE_PGM_RSRC3_GFX90A:ACCUM_OFFSET: 0
; COMPUTE_PGM_RSRC3_GFX90A:TG_SPLIT: 0
	.section	.text._ZN7rocprim17ROCPRIM_400000_NS6detail17trampoline_kernelINS0_14default_configENS1_25partition_config_selectorILNS1_17partition_subalgoE9EiibEEZZNS1_14partition_implILS5_9ELb0ES3_jPKiN6thrust23THRUST_200600_302600_NS17counting_iteratorIiNSB_11use_defaultESD_SD_EEPNS0_10empty_typeENS0_5tupleIJPiSF_EEENSH_IJSI_SG_EEENS0_18inequality_wrapperIN6hipcub16HIPCUB_304000_NS8EqualityEEEPlJSF_EEE10hipError_tPvRmT3_T4_T5_T6_T7_T9_mT8_P12ihipStream_tbDpT10_ENKUlT_T0_E_clISt17integral_constantIbLb0EES19_IbLb1EEEEDaS15_S16_EUlS15_E_NS1_11comp_targetILNS1_3genE9ELNS1_11target_archE1100ELNS1_3gpuE3ELNS1_3repE0EEENS1_30default_config_static_selectorELNS0_4arch9wavefront6targetE1EEEvT1_,"axG",@progbits,_ZN7rocprim17ROCPRIM_400000_NS6detail17trampoline_kernelINS0_14default_configENS1_25partition_config_selectorILNS1_17partition_subalgoE9EiibEEZZNS1_14partition_implILS5_9ELb0ES3_jPKiN6thrust23THRUST_200600_302600_NS17counting_iteratorIiNSB_11use_defaultESD_SD_EEPNS0_10empty_typeENS0_5tupleIJPiSF_EEENSH_IJSI_SG_EEENS0_18inequality_wrapperIN6hipcub16HIPCUB_304000_NS8EqualityEEEPlJSF_EEE10hipError_tPvRmT3_T4_T5_T6_T7_T9_mT8_P12ihipStream_tbDpT10_ENKUlT_T0_E_clISt17integral_constantIbLb0EES19_IbLb1EEEEDaS15_S16_EUlS15_E_NS1_11comp_targetILNS1_3genE9ELNS1_11target_archE1100ELNS1_3gpuE3ELNS1_3repE0EEENS1_30default_config_static_selectorELNS0_4arch9wavefront6targetE1EEEvT1_,comdat
	.protected	_ZN7rocprim17ROCPRIM_400000_NS6detail17trampoline_kernelINS0_14default_configENS1_25partition_config_selectorILNS1_17partition_subalgoE9EiibEEZZNS1_14partition_implILS5_9ELb0ES3_jPKiN6thrust23THRUST_200600_302600_NS17counting_iteratorIiNSB_11use_defaultESD_SD_EEPNS0_10empty_typeENS0_5tupleIJPiSF_EEENSH_IJSI_SG_EEENS0_18inequality_wrapperIN6hipcub16HIPCUB_304000_NS8EqualityEEEPlJSF_EEE10hipError_tPvRmT3_T4_T5_T6_T7_T9_mT8_P12ihipStream_tbDpT10_ENKUlT_T0_E_clISt17integral_constantIbLb0EES19_IbLb1EEEEDaS15_S16_EUlS15_E_NS1_11comp_targetILNS1_3genE9ELNS1_11target_archE1100ELNS1_3gpuE3ELNS1_3repE0EEENS1_30default_config_static_selectorELNS0_4arch9wavefront6targetE1EEEvT1_ ; -- Begin function _ZN7rocprim17ROCPRIM_400000_NS6detail17trampoline_kernelINS0_14default_configENS1_25partition_config_selectorILNS1_17partition_subalgoE9EiibEEZZNS1_14partition_implILS5_9ELb0ES3_jPKiN6thrust23THRUST_200600_302600_NS17counting_iteratorIiNSB_11use_defaultESD_SD_EEPNS0_10empty_typeENS0_5tupleIJPiSF_EEENSH_IJSI_SG_EEENS0_18inequality_wrapperIN6hipcub16HIPCUB_304000_NS8EqualityEEEPlJSF_EEE10hipError_tPvRmT3_T4_T5_T6_T7_T9_mT8_P12ihipStream_tbDpT10_ENKUlT_T0_E_clISt17integral_constantIbLb0EES19_IbLb1EEEEDaS15_S16_EUlS15_E_NS1_11comp_targetILNS1_3genE9ELNS1_11target_archE1100ELNS1_3gpuE3ELNS1_3repE0EEENS1_30default_config_static_selectorELNS0_4arch9wavefront6targetE1EEEvT1_
	.globl	_ZN7rocprim17ROCPRIM_400000_NS6detail17trampoline_kernelINS0_14default_configENS1_25partition_config_selectorILNS1_17partition_subalgoE9EiibEEZZNS1_14partition_implILS5_9ELb0ES3_jPKiN6thrust23THRUST_200600_302600_NS17counting_iteratorIiNSB_11use_defaultESD_SD_EEPNS0_10empty_typeENS0_5tupleIJPiSF_EEENSH_IJSI_SG_EEENS0_18inequality_wrapperIN6hipcub16HIPCUB_304000_NS8EqualityEEEPlJSF_EEE10hipError_tPvRmT3_T4_T5_T6_T7_T9_mT8_P12ihipStream_tbDpT10_ENKUlT_T0_E_clISt17integral_constantIbLb0EES19_IbLb1EEEEDaS15_S16_EUlS15_E_NS1_11comp_targetILNS1_3genE9ELNS1_11target_archE1100ELNS1_3gpuE3ELNS1_3repE0EEENS1_30default_config_static_selectorELNS0_4arch9wavefront6targetE1EEEvT1_
	.p2align	8
	.type	_ZN7rocprim17ROCPRIM_400000_NS6detail17trampoline_kernelINS0_14default_configENS1_25partition_config_selectorILNS1_17partition_subalgoE9EiibEEZZNS1_14partition_implILS5_9ELb0ES3_jPKiN6thrust23THRUST_200600_302600_NS17counting_iteratorIiNSB_11use_defaultESD_SD_EEPNS0_10empty_typeENS0_5tupleIJPiSF_EEENSH_IJSI_SG_EEENS0_18inequality_wrapperIN6hipcub16HIPCUB_304000_NS8EqualityEEEPlJSF_EEE10hipError_tPvRmT3_T4_T5_T6_T7_T9_mT8_P12ihipStream_tbDpT10_ENKUlT_T0_E_clISt17integral_constantIbLb0EES19_IbLb1EEEEDaS15_S16_EUlS15_E_NS1_11comp_targetILNS1_3genE9ELNS1_11target_archE1100ELNS1_3gpuE3ELNS1_3repE0EEENS1_30default_config_static_selectorELNS0_4arch9wavefront6targetE1EEEvT1_,@function
_ZN7rocprim17ROCPRIM_400000_NS6detail17trampoline_kernelINS0_14default_configENS1_25partition_config_selectorILNS1_17partition_subalgoE9EiibEEZZNS1_14partition_implILS5_9ELb0ES3_jPKiN6thrust23THRUST_200600_302600_NS17counting_iteratorIiNSB_11use_defaultESD_SD_EEPNS0_10empty_typeENS0_5tupleIJPiSF_EEENSH_IJSI_SG_EEENS0_18inequality_wrapperIN6hipcub16HIPCUB_304000_NS8EqualityEEEPlJSF_EEE10hipError_tPvRmT3_T4_T5_T6_T7_T9_mT8_P12ihipStream_tbDpT10_ENKUlT_T0_E_clISt17integral_constantIbLb0EES19_IbLb1EEEEDaS15_S16_EUlS15_E_NS1_11comp_targetILNS1_3genE9ELNS1_11target_archE1100ELNS1_3gpuE3ELNS1_3repE0EEENS1_30default_config_static_selectorELNS0_4arch9wavefront6targetE1EEEvT1_: ; @_ZN7rocprim17ROCPRIM_400000_NS6detail17trampoline_kernelINS0_14default_configENS1_25partition_config_selectorILNS1_17partition_subalgoE9EiibEEZZNS1_14partition_implILS5_9ELb0ES3_jPKiN6thrust23THRUST_200600_302600_NS17counting_iteratorIiNSB_11use_defaultESD_SD_EEPNS0_10empty_typeENS0_5tupleIJPiSF_EEENSH_IJSI_SG_EEENS0_18inequality_wrapperIN6hipcub16HIPCUB_304000_NS8EqualityEEEPlJSF_EEE10hipError_tPvRmT3_T4_T5_T6_T7_T9_mT8_P12ihipStream_tbDpT10_ENKUlT_T0_E_clISt17integral_constantIbLb0EES19_IbLb1EEEEDaS15_S16_EUlS15_E_NS1_11comp_targetILNS1_3genE9ELNS1_11target_archE1100ELNS1_3gpuE3ELNS1_3repE0EEENS1_30default_config_static_selectorELNS0_4arch9wavefront6targetE1EEEvT1_
; %bb.0:
	.section	.rodata,"a",@progbits
	.p2align	6, 0x0
	.amdhsa_kernel _ZN7rocprim17ROCPRIM_400000_NS6detail17trampoline_kernelINS0_14default_configENS1_25partition_config_selectorILNS1_17partition_subalgoE9EiibEEZZNS1_14partition_implILS5_9ELb0ES3_jPKiN6thrust23THRUST_200600_302600_NS17counting_iteratorIiNSB_11use_defaultESD_SD_EEPNS0_10empty_typeENS0_5tupleIJPiSF_EEENSH_IJSI_SG_EEENS0_18inequality_wrapperIN6hipcub16HIPCUB_304000_NS8EqualityEEEPlJSF_EEE10hipError_tPvRmT3_T4_T5_T6_T7_T9_mT8_P12ihipStream_tbDpT10_ENKUlT_T0_E_clISt17integral_constantIbLb0EES19_IbLb1EEEEDaS15_S16_EUlS15_E_NS1_11comp_targetILNS1_3genE9ELNS1_11target_archE1100ELNS1_3gpuE3ELNS1_3repE0EEENS1_30default_config_static_selectorELNS0_4arch9wavefront6targetE1EEEvT1_
		.amdhsa_group_segment_fixed_size 0
		.amdhsa_private_segment_fixed_size 0
		.amdhsa_kernarg_size 128
		.amdhsa_user_sgpr_count 6
		.amdhsa_user_sgpr_private_segment_buffer 1
		.amdhsa_user_sgpr_dispatch_ptr 0
		.amdhsa_user_sgpr_queue_ptr 0
		.amdhsa_user_sgpr_kernarg_segment_ptr 1
		.amdhsa_user_sgpr_dispatch_id 0
		.amdhsa_user_sgpr_flat_scratch_init 0
		.amdhsa_user_sgpr_kernarg_preload_length 0
		.amdhsa_user_sgpr_kernarg_preload_offset 0
		.amdhsa_user_sgpr_private_segment_size 0
		.amdhsa_uses_dynamic_stack 0
		.amdhsa_system_sgpr_private_segment_wavefront_offset 0
		.amdhsa_system_sgpr_workgroup_id_x 1
		.amdhsa_system_sgpr_workgroup_id_y 0
		.amdhsa_system_sgpr_workgroup_id_z 0
		.amdhsa_system_sgpr_workgroup_info 0
		.amdhsa_system_vgpr_workitem_id 0
		.amdhsa_next_free_vgpr 1
		.amdhsa_next_free_sgpr 0
		.amdhsa_accum_offset 4
		.amdhsa_reserve_vcc 0
		.amdhsa_reserve_flat_scratch 0
		.amdhsa_float_round_mode_32 0
		.amdhsa_float_round_mode_16_64 0
		.amdhsa_float_denorm_mode_32 3
		.amdhsa_float_denorm_mode_16_64 3
		.amdhsa_dx10_clamp 1
		.amdhsa_ieee_mode 1
		.amdhsa_fp16_overflow 0
		.amdhsa_tg_split 0
		.amdhsa_exception_fp_ieee_invalid_op 0
		.amdhsa_exception_fp_denorm_src 0
		.amdhsa_exception_fp_ieee_div_zero 0
		.amdhsa_exception_fp_ieee_overflow 0
		.amdhsa_exception_fp_ieee_underflow 0
		.amdhsa_exception_fp_ieee_inexact 0
		.amdhsa_exception_int_div_zero 0
	.end_amdhsa_kernel
	.section	.text._ZN7rocprim17ROCPRIM_400000_NS6detail17trampoline_kernelINS0_14default_configENS1_25partition_config_selectorILNS1_17partition_subalgoE9EiibEEZZNS1_14partition_implILS5_9ELb0ES3_jPKiN6thrust23THRUST_200600_302600_NS17counting_iteratorIiNSB_11use_defaultESD_SD_EEPNS0_10empty_typeENS0_5tupleIJPiSF_EEENSH_IJSI_SG_EEENS0_18inequality_wrapperIN6hipcub16HIPCUB_304000_NS8EqualityEEEPlJSF_EEE10hipError_tPvRmT3_T4_T5_T6_T7_T9_mT8_P12ihipStream_tbDpT10_ENKUlT_T0_E_clISt17integral_constantIbLb0EES19_IbLb1EEEEDaS15_S16_EUlS15_E_NS1_11comp_targetILNS1_3genE9ELNS1_11target_archE1100ELNS1_3gpuE3ELNS1_3repE0EEENS1_30default_config_static_selectorELNS0_4arch9wavefront6targetE1EEEvT1_,"axG",@progbits,_ZN7rocprim17ROCPRIM_400000_NS6detail17trampoline_kernelINS0_14default_configENS1_25partition_config_selectorILNS1_17partition_subalgoE9EiibEEZZNS1_14partition_implILS5_9ELb0ES3_jPKiN6thrust23THRUST_200600_302600_NS17counting_iteratorIiNSB_11use_defaultESD_SD_EEPNS0_10empty_typeENS0_5tupleIJPiSF_EEENSH_IJSI_SG_EEENS0_18inequality_wrapperIN6hipcub16HIPCUB_304000_NS8EqualityEEEPlJSF_EEE10hipError_tPvRmT3_T4_T5_T6_T7_T9_mT8_P12ihipStream_tbDpT10_ENKUlT_T0_E_clISt17integral_constantIbLb0EES19_IbLb1EEEEDaS15_S16_EUlS15_E_NS1_11comp_targetILNS1_3genE9ELNS1_11target_archE1100ELNS1_3gpuE3ELNS1_3repE0EEENS1_30default_config_static_selectorELNS0_4arch9wavefront6targetE1EEEvT1_,comdat
.Lfunc_end42:
	.size	_ZN7rocprim17ROCPRIM_400000_NS6detail17trampoline_kernelINS0_14default_configENS1_25partition_config_selectorILNS1_17partition_subalgoE9EiibEEZZNS1_14partition_implILS5_9ELb0ES3_jPKiN6thrust23THRUST_200600_302600_NS17counting_iteratorIiNSB_11use_defaultESD_SD_EEPNS0_10empty_typeENS0_5tupleIJPiSF_EEENSH_IJSI_SG_EEENS0_18inequality_wrapperIN6hipcub16HIPCUB_304000_NS8EqualityEEEPlJSF_EEE10hipError_tPvRmT3_T4_T5_T6_T7_T9_mT8_P12ihipStream_tbDpT10_ENKUlT_T0_E_clISt17integral_constantIbLb0EES19_IbLb1EEEEDaS15_S16_EUlS15_E_NS1_11comp_targetILNS1_3genE9ELNS1_11target_archE1100ELNS1_3gpuE3ELNS1_3repE0EEENS1_30default_config_static_selectorELNS0_4arch9wavefront6targetE1EEEvT1_, .Lfunc_end42-_ZN7rocprim17ROCPRIM_400000_NS6detail17trampoline_kernelINS0_14default_configENS1_25partition_config_selectorILNS1_17partition_subalgoE9EiibEEZZNS1_14partition_implILS5_9ELb0ES3_jPKiN6thrust23THRUST_200600_302600_NS17counting_iteratorIiNSB_11use_defaultESD_SD_EEPNS0_10empty_typeENS0_5tupleIJPiSF_EEENSH_IJSI_SG_EEENS0_18inequality_wrapperIN6hipcub16HIPCUB_304000_NS8EqualityEEEPlJSF_EEE10hipError_tPvRmT3_T4_T5_T6_T7_T9_mT8_P12ihipStream_tbDpT10_ENKUlT_T0_E_clISt17integral_constantIbLb0EES19_IbLb1EEEEDaS15_S16_EUlS15_E_NS1_11comp_targetILNS1_3genE9ELNS1_11target_archE1100ELNS1_3gpuE3ELNS1_3repE0EEENS1_30default_config_static_selectorELNS0_4arch9wavefront6targetE1EEEvT1_
                                        ; -- End function
	.section	.AMDGPU.csdata,"",@progbits
; Kernel info:
; codeLenInByte = 0
; NumSgprs: 4
; NumVgprs: 0
; NumAgprs: 0
; TotalNumVgprs: 0
; ScratchSize: 0
; MemoryBound: 0
; FloatMode: 240
; IeeeMode: 1
; LDSByteSize: 0 bytes/workgroup (compile time only)
; SGPRBlocks: 0
; VGPRBlocks: 0
; NumSGPRsForWavesPerEU: 4
; NumVGPRsForWavesPerEU: 1
; AccumOffset: 4
; Occupancy: 8
; WaveLimiterHint : 0
; COMPUTE_PGM_RSRC2:SCRATCH_EN: 0
; COMPUTE_PGM_RSRC2:USER_SGPR: 6
; COMPUTE_PGM_RSRC2:TRAP_HANDLER: 0
; COMPUTE_PGM_RSRC2:TGID_X_EN: 1
; COMPUTE_PGM_RSRC2:TGID_Y_EN: 0
; COMPUTE_PGM_RSRC2:TGID_Z_EN: 0
; COMPUTE_PGM_RSRC2:TIDIG_COMP_CNT: 0
; COMPUTE_PGM_RSRC3_GFX90A:ACCUM_OFFSET: 0
; COMPUTE_PGM_RSRC3_GFX90A:TG_SPLIT: 0
	.section	.text._ZN7rocprim17ROCPRIM_400000_NS6detail17trampoline_kernelINS0_14default_configENS1_25partition_config_selectorILNS1_17partition_subalgoE9EiibEEZZNS1_14partition_implILS5_9ELb0ES3_jPKiN6thrust23THRUST_200600_302600_NS17counting_iteratorIiNSB_11use_defaultESD_SD_EEPNS0_10empty_typeENS0_5tupleIJPiSF_EEENSH_IJSI_SG_EEENS0_18inequality_wrapperIN6hipcub16HIPCUB_304000_NS8EqualityEEEPlJSF_EEE10hipError_tPvRmT3_T4_T5_T6_T7_T9_mT8_P12ihipStream_tbDpT10_ENKUlT_T0_E_clISt17integral_constantIbLb0EES19_IbLb1EEEEDaS15_S16_EUlS15_E_NS1_11comp_targetILNS1_3genE8ELNS1_11target_archE1030ELNS1_3gpuE2ELNS1_3repE0EEENS1_30default_config_static_selectorELNS0_4arch9wavefront6targetE1EEEvT1_,"axG",@progbits,_ZN7rocprim17ROCPRIM_400000_NS6detail17trampoline_kernelINS0_14default_configENS1_25partition_config_selectorILNS1_17partition_subalgoE9EiibEEZZNS1_14partition_implILS5_9ELb0ES3_jPKiN6thrust23THRUST_200600_302600_NS17counting_iteratorIiNSB_11use_defaultESD_SD_EEPNS0_10empty_typeENS0_5tupleIJPiSF_EEENSH_IJSI_SG_EEENS0_18inequality_wrapperIN6hipcub16HIPCUB_304000_NS8EqualityEEEPlJSF_EEE10hipError_tPvRmT3_T4_T5_T6_T7_T9_mT8_P12ihipStream_tbDpT10_ENKUlT_T0_E_clISt17integral_constantIbLb0EES19_IbLb1EEEEDaS15_S16_EUlS15_E_NS1_11comp_targetILNS1_3genE8ELNS1_11target_archE1030ELNS1_3gpuE2ELNS1_3repE0EEENS1_30default_config_static_selectorELNS0_4arch9wavefront6targetE1EEEvT1_,comdat
	.protected	_ZN7rocprim17ROCPRIM_400000_NS6detail17trampoline_kernelINS0_14default_configENS1_25partition_config_selectorILNS1_17partition_subalgoE9EiibEEZZNS1_14partition_implILS5_9ELb0ES3_jPKiN6thrust23THRUST_200600_302600_NS17counting_iteratorIiNSB_11use_defaultESD_SD_EEPNS0_10empty_typeENS0_5tupleIJPiSF_EEENSH_IJSI_SG_EEENS0_18inequality_wrapperIN6hipcub16HIPCUB_304000_NS8EqualityEEEPlJSF_EEE10hipError_tPvRmT3_T4_T5_T6_T7_T9_mT8_P12ihipStream_tbDpT10_ENKUlT_T0_E_clISt17integral_constantIbLb0EES19_IbLb1EEEEDaS15_S16_EUlS15_E_NS1_11comp_targetILNS1_3genE8ELNS1_11target_archE1030ELNS1_3gpuE2ELNS1_3repE0EEENS1_30default_config_static_selectorELNS0_4arch9wavefront6targetE1EEEvT1_ ; -- Begin function _ZN7rocprim17ROCPRIM_400000_NS6detail17trampoline_kernelINS0_14default_configENS1_25partition_config_selectorILNS1_17partition_subalgoE9EiibEEZZNS1_14partition_implILS5_9ELb0ES3_jPKiN6thrust23THRUST_200600_302600_NS17counting_iteratorIiNSB_11use_defaultESD_SD_EEPNS0_10empty_typeENS0_5tupleIJPiSF_EEENSH_IJSI_SG_EEENS0_18inequality_wrapperIN6hipcub16HIPCUB_304000_NS8EqualityEEEPlJSF_EEE10hipError_tPvRmT3_T4_T5_T6_T7_T9_mT8_P12ihipStream_tbDpT10_ENKUlT_T0_E_clISt17integral_constantIbLb0EES19_IbLb1EEEEDaS15_S16_EUlS15_E_NS1_11comp_targetILNS1_3genE8ELNS1_11target_archE1030ELNS1_3gpuE2ELNS1_3repE0EEENS1_30default_config_static_selectorELNS0_4arch9wavefront6targetE1EEEvT1_
	.globl	_ZN7rocprim17ROCPRIM_400000_NS6detail17trampoline_kernelINS0_14default_configENS1_25partition_config_selectorILNS1_17partition_subalgoE9EiibEEZZNS1_14partition_implILS5_9ELb0ES3_jPKiN6thrust23THRUST_200600_302600_NS17counting_iteratorIiNSB_11use_defaultESD_SD_EEPNS0_10empty_typeENS0_5tupleIJPiSF_EEENSH_IJSI_SG_EEENS0_18inequality_wrapperIN6hipcub16HIPCUB_304000_NS8EqualityEEEPlJSF_EEE10hipError_tPvRmT3_T4_T5_T6_T7_T9_mT8_P12ihipStream_tbDpT10_ENKUlT_T0_E_clISt17integral_constantIbLb0EES19_IbLb1EEEEDaS15_S16_EUlS15_E_NS1_11comp_targetILNS1_3genE8ELNS1_11target_archE1030ELNS1_3gpuE2ELNS1_3repE0EEENS1_30default_config_static_selectorELNS0_4arch9wavefront6targetE1EEEvT1_
	.p2align	8
	.type	_ZN7rocprim17ROCPRIM_400000_NS6detail17trampoline_kernelINS0_14default_configENS1_25partition_config_selectorILNS1_17partition_subalgoE9EiibEEZZNS1_14partition_implILS5_9ELb0ES3_jPKiN6thrust23THRUST_200600_302600_NS17counting_iteratorIiNSB_11use_defaultESD_SD_EEPNS0_10empty_typeENS0_5tupleIJPiSF_EEENSH_IJSI_SG_EEENS0_18inequality_wrapperIN6hipcub16HIPCUB_304000_NS8EqualityEEEPlJSF_EEE10hipError_tPvRmT3_T4_T5_T6_T7_T9_mT8_P12ihipStream_tbDpT10_ENKUlT_T0_E_clISt17integral_constantIbLb0EES19_IbLb1EEEEDaS15_S16_EUlS15_E_NS1_11comp_targetILNS1_3genE8ELNS1_11target_archE1030ELNS1_3gpuE2ELNS1_3repE0EEENS1_30default_config_static_selectorELNS0_4arch9wavefront6targetE1EEEvT1_,@function
_ZN7rocprim17ROCPRIM_400000_NS6detail17trampoline_kernelINS0_14default_configENS1_25partition_config_selectorILNS1_17partition_subalgoE9EiibEEZZNS1_14partition_implILS5_9ELb0ES3_jPKiN6thrust23THRUST_200600_302600_NS17counting_iteratorIiNSB_11use_defaultESD_SD_EEPNS0_10empty_typeENS0_5tupleIJPiSF_EEENSH_IJSI_SG_EEENS0_18inequality_wrapperIN6hipcub16HIPCUB_304000_NS8EqualityEEEPlJSF_EEE10hipError_tPvRmT3_T4_T5_T6_T7_T9_mT8_P12ihipStream_tbDpT10_ENKUlT_T0_E_clISt17integral_constantIbLb0EES19_IbLb1EEEEDaS15_S16_EUlS15_E_NS1_11comp_targetILNS1_3genE8ELNS1_11target_archE1030ELNS1_3gpuE2ELNS1_3repE0EEENS1_30default_config_static_selectorELNS0_4arch9wavefront6targetE1EEEvT1_: ; @_ZN7rocprim17ROCPRIM_400000_NS6detail17trampoline_kernelINS0_14default_configENS1_25partition_config_selectorILNS1_17partition_subalgoE9EiibEEZZNS1_14partition_implILS5_9ELb0ES3_jPKiN6thrust23THRUST_200600_302600_NS17counting_iteratorIiNSB_11use_defaultESD_SD_EEPNS0_10empty_typeENS0_5tupleIJPiSF_EEENSH_IJSI_SG_EEENS0_18inequality_wrapperIN6hipcub16HIPCUB_304000_NS8EqualityEEEPlJSF_EEE10hipError_tPvRmT3_T4_T5_T6_T7_T9_mT8_P12ihipStream_tbDpT10_ENKUlT_T0_E_clISt17integral_constantIbLb0EES19_IbLb1EEEEDaS15_S16_EUlS15_E_NS1_11comp_targetILNS1_3genE8ELNS1_11target_archE1030ELNS1_3gpuE2ELNS1_3repE0EEENS1_30default_config_static_selectorELNS0_4arch9wavefront6targetE1EEEvT1_
; %bb.0:
	.section	.rodata,"a",@progbits
	.p2align	6, 0x0
	.amdhsa_kernel _ZN7rocprim17ROCPRIM_400000_NS6detail17trampoline_kernelINS0_14default_configENS1_25partition_config_selectorILNS1_17partition_subalgoE9EiibEEZZNS1_14partition_implILS5_9ELb0ES3_jPKiN6thrust23THRUST_200600_302600_NS17counting_iteratorIiNSB_11use_defaultESD_SD_EEPNS0_10empty_typeENS0_5tupleIJPiSF_EEENSH_IJSI_SG_EEENS0_18inequality_wrapperIN6hipcub16HIPCUB_304000_NS8EqualityEEEPlJSF_EEE10hipError_tPvRmT3_T4_T5_T6_T7_T9_mT8_P12ihipStream_tbDpT10_ENKUlT_T0_E_clISt17integral_constantIbLb0EES19_IbLb1EEEEDaS15_S16_EUlS15_E_NS1_11comp_targetILNS1_3genE8ELNS1_11target_archE1030ELNS1_3gpuE2ELNS1_3repE0EEENS1_30default_config_static_selectorELNS0_4arch9wavefront6targetE1EEEvT1_
		.amdhsa_group_segment_fixed_size 0
		.amdhsa_private_segment_fixed_size 0
		.amdhsa_kernarg_size 128
		.amdhsa_user_sgpr_count 6
		.amdhsa_user_sgpr_private_segment_buffer 1
		.amdhsa_user_sgpr_dispatch_ptr 0
		.amdhsa_user_sgpr_queue_ptr 0
		.amdhsa_user_sgpr_kernarg_segment_ptr 1
		.amdhsa_user_sgpr_dispatch_id 0
		.amdhsa_user_sgpr_flat_scratch_init 0
		.amdhsa_user_sgpr_kernarg_preload_length 0
		.amdhsa_user_sgpr_kernarg_preload_offset 0
		.amdhsa_user_sgpr_private_segment_size 0
		.amdhsa_uses_dynamic_stack 0
		.amdhsa_system_sgpr_private_segment_wavefront_offset 0
		.amdhsa_system_sgpr_workgroup_id_x 1
		.amdhsa_system_sgpr_workgroup_id_y 0
		.amdhsa_system_sgpr_workgroup_id_z 0
		.amdhsa_system_sgpr_workgroup_info 0
		.amdhsa_system_vgpr_workitem_id 0
		.amdhsa_next_free_vgpr 1
		.amdhsa_next_free_sgpr 0
		.amdhsa_accum_offset 4
		.amdhsa_reserve_vcc 0
		.amdhsa_reserve_flat_scratch 0
		.amdhsa_float_round_mode_32 0
		.amdhsa_float_round_mode_16_64 0
		.amdhsa_float_denorm_mode_32 3
		.amdhsa_float_denorm_mode_16_64 3
		.amdhsa_dx10_clamp 1
		.amdhsa_ieee_mode 1
		.amdhsa_fp16_overflow 0
		.amdhsa_tg_split 0
		.amdhsa_exception_fp_ieee_invalid_op 0
		.amdhsa_exception_fp_denorm_src 0
		.amdhsa_exception_fp_ieee_div_zero 0
		.amdhsa_exception_fp_ieee_overflow 0
		.amdhsa_exception_fp_ieee_underflow 0
		.amdhsa_exception_fp_ieee_inexact 0
		.amdhsa_exception_int_div_zero 0
	.end_amdhsa_kernel
	.section	.text._ZN7rocprim17ROCPRIM_400000_NS6detail17trampoline_kernelINS0_14default_configENS1_25partition_config_selectorILNS1_17partition_subalgoE9EiibEEZZNS1_14partition_implILS5_9ELb0ES3_jPKiN6thrust23THRUST_200600_302600_NS17counting_iteratorIiNSB_11use_defaultESD_SD_EEPNS0_10empty_typeENS0_5tupleIJPiSF_EEENSH_IJSI_SG_EEENS0_18inequality_wrapperIN6hipcub16HIPCUB_304000_NS8EqualityEEEPlJSF_EEE10hipError_tPvRmT3_T4_T5_T6_T7_T9_mT8_P12ihipStream_tbDpT10_ENKUlT_T0_E_clISt17integral_constantIbLb0EES19_IbLb1EEEEDaS15_S16_EUlS15_E_NS1_11comp_targetILNS1_3genE8ELNS1_11target_archE1030ELNS1_3gpuE2ELNS1_3repE0EEENS1_30default_config_static_selectorELNS0_4arch9wavefront6targetE1EEEvT1_,"axG",@progbits,_ZN7rocprim17ROCPRIM_400000_NS6detail17trampoline_kernelINS0_14default_configENS1_25partition_config_selectorILNS1_17partition_subalgoE9EiibEEZZNS1_14partition_implILS5_9ELb0ES3_jPKiN6thrust23THRUST_200600_302600_NS17counting_iteratorIiNSB_11use_defaultESD_SD_EEPNS0_10empty_typeENS0_5tupleIJPiSF_EEENSH_IJSI_SG_EEENS0_18inequality_wrapperIN6hipcub16HIPCUB_304000_NS8EqualityEEEPlJSF_EEE10hipError_tPvRmT3_T4_T5_T6_T7_T9_mT8_P12ihipStream_tbDpT10_ENKUlT_T0_E_clISt17integral_constantIbLb0EES19_IbLb1EEEEDaS15_S16_EUlS15_E_NS1_11comp_targetILNS1_3genE8ELNS1_11target_archE1030ELNS1_3gpuE2ELNS1_3repE0EEENS1_30default_config_static_selectorELNS0_4arch9wavefront6targetE1EEEvT1_,comdat
.Lfunc_end43:
	.size	_ZN7rocprim17ROCPRIM_400000_NS6detail17trampoline_kernelINS0_14default_configENS1_25partition_config_selectorILNS1_17partition_subalgoE9EiibEEZZNS1_14partition_implILS5_9ELb0ES3_jPKiN6thrust23THRUST_200600_302600_NS17counting_iteratorIiNSB_11use_defaultESD_SD_EEPNS0_10empty_typeENS0_5tupleIJPiSF_EEENSH_IJSI_SG_EEENS0_18inequality_wrapperIN6hipcub16HIPCUB_304000_NS8EqualityEEEPlJSF_EEE10hipError_tPvRmT3_T4_T5_T6_T7_T9_mT8_P12ihipStream_tbDpT10_ENKUlT_T0_E_clISt17integral_constantIbLb0EES19_IbLb1EEEEDaS15_S16_EUlS15_E_NS1_11comp_targetILNS1_3genE8ELNS1_11target_archE1030ELNS1_3gpuE2ELNS1_3repE0EEENS1_30default_config_static_selectorELNS0_4arch9wavefront6targetE1EEEvT1_, .Lfunc_end43-_ZN7rocprim17ROCPRIM_400000_NS6detail17trampoline_kernelINS0_14default_configENS1_25partition_config_selectorILNS1_17partition_subalgoE9EiibEEZZNS1_14partition_implILS5_9ELb0ES3_jPKiN6thrust23THRUST_200600_302600_NS17counting_iteratorIiNSB_11use_defaultESD_SD_EEPNS0_10empty_typeENS0_5tupleIJPiSF_EEENSH_IJSI_SG_EEENS0_18inequality_wrapperIN6hipcub16HIPCUB_304000_NS8EqualityEEEPlJSF_EEE10hipError_tPvRmT3_T4_T5_T6_T7_T9_mT8_P12ihipStream_tbDpT10_ENKUlT_T0_E_clISt17integral_constantIbLb0EES19_IbLb1EEEEDaS15_S16_EUlS15_E_NS1_11comp_targetILNS1_3genE8ELNS1_11target_archE1030ELNS1_3gpuE2ELNS1_3repE0EEENS1_30default_config_static_selectorELNS0_4arch9wavefront6targetE1EEEvT1_
                                        ; -- End function
	.section	.AMDGPU.csdata,"",@progbits
; Kernel info:
; codeLenInByte = 0
; NumSgprs: 4
; NumVgprs: 0
; NumAgprs: 0
; TotalNumVgprs: 0
; ScratchSize: 0
; MemoryBound: 0
; FloatMode: 240
; IeeeMode: 1
; LDSByteSize: 0 bytes/workgroup (compile time only)
; SGPRBlocks: 0
; VGPRBlocks: 0
; NumSGPRsForWavesPerEU: 4
; NumVGPRsForWavesPerEU: 1
; AccumOffset: 4
; Occupancy: 8
; WaveLimiterHint : 0
; COMPUTE_PGM_RSRC2:SCRATCH_EN: 0
; COMPUTE_PGM_RSRC2:USER_SGPR: 6
; COMPUTE_PGM_RSRC2:TRAP_HANDLER: 0
; COMPUTE_PGM_RSRC2:TGID_X_EN: 1
; COMPUTE_PGM_RSRC2:TGID_Y_EN: 0
; COMPUTE_PGM_RSRC2:TGID_Z_EN: 0
; COMPUTE_PGM_RSRC2:TIDIG_COMP_CNT: 0
; COMPUTE_PGM_RSRC3_GFX90A:ACCUM_OFFSET: 0
; COMPUTE_PGM_RSRC3_GFX90A:TG_SPLIT: 0
	.section	.text._ZN7rocprim17ROCPRIM_400000_NS6detail17trampoline_kernelINS0_14default_configENS1_25partition_config_selectorILNS1_17partition_subalgoE9EllbEEZZNS1_14partition_implILS5_9ELb0ES3_jPKlN6thrust23THRUST_200600_302600_NS17counting_iteratorIlNSB_11use_defaultESD_SD_EEPNS0_10empty_typeENS0_5tupleIJPlSF_EEENSH_IJSI_SG_EEENS0_18inequality_wrapperIN6hipcub16HIPCUB_304000_NS8EqualityEEESI_JSF_EEE10hipError_tPvRmT3_T4_T5_T6_T7_T9_mT8_P12ihipStream_tbDpT10_ENKUlT_T0_E_clISt17integral_constantIbLb0EES19_EEDaS14_S15_EUlS14_E_NS1_11comp_targetILNS1_3genE0ELNS1_11target_archE4294967295ELNS1_3gpuE0ELNS1_3repE0EEENS1_30default_config_static_selectorELNS0_4arch9wavefront6targetE1EEEvT1_,"axG",@progbits,_ZN7rocprim17ROCPRIM_400000_NS6detail17trampoline_kernelINS0_14default_configENS1_25partition_config_selectorILNS1_17partition_subalgoE9EllbEEZZNS1_14partition_implILS5_9ELb0ES3_jPKlN6thrust23THRUST_200600_302600_NS17counting_iteratorIlNSB_11use_defaultESD_SD_EEPNS0_10empty_typeENS0_5tupleIJPlSF_EEENSH_IJSI_SG_EEENS0_18inequality_wrapperIN6hipcub16HIPCUB_304000_NS8EqualityEEESI_JSF_EEE10hipError_tPvRmT3_T4_T5_T6_T7_T9_mT8_P12ihipStream_tbDpT10_ENKUlT_T0_E_clISt17integral_constantIbLb0EES19_EEDaS14_S15_EUlS14_E_NS1_11comp_targetILNS1_3genE0ELNS1_11target_archE4294967295ELNS1_3gpuE0ELNS1_3repE0EEENS1_30default_config_static_selectorELNS0_4arch9wavefront6targetE1EEEvT1_,comdat
	.protected	_ZN7rocprim17ROCPRIM_400000_NS6detail17trampoline_kernelINS0_14default_configENS1_25partition_config_selectorILNS1_17partition_subalgoE9EllbEEZZNS1_14partition_implILS5_9ELb0ES3_jPKlN6thrust23THRUST_200600_302600_NS17counting_iteratorIlNSB_11use_defaultESD_SD_EEPNS0_10empty_typeENS0_5tupleIJPlSF_EEENSH_IJSI_SG_EEENS0_18inequality_wrapperIN6hipcub16HIPCUB_304000_NS8EqualityEEESI_JSF_EEE10hipError_tPvRmT3_T4_T5_T6_T7_T9_mT8_P12ihipStream_tbDpT10_ENKUlT_T0_E_clISt17integral_constantIbLb0EES19_EEDaS14_S15_EUlS14_E_NS1_11comp_targetILNS1_3genE0ELNS1_11target_archE4294967295ELNS1_3gpuE0ELNS1_3repE0EEENS1_30default_config_static_selectorELNS0_4arch9wavefront6targetE1EEEvT1_ ; -- Begin function _ZN7rocprim17ROCPRIM_400000_NS6detail17trampoline_kernelINS0_14default_configENS1_25partition_config_selectorILNS1_17partition_subalgoE9EllbEEZZNS1_14partition_implILS5_9ELb0ES3_jPKlN6thrust23THRUST_200600_302600_NS17counting_iteratorIlNSB_11use_defaultESD_SD_EEPNS0_10empty_typeENS0_5tupleIJPlSF_EEENSH_IJSI_SG_EEENS0_18inequality_wrapperIN6hipcub16HIPCUB_304000_NS8EqualityEEESI_JSF_EEE10hipError_tPvRmT3_T4_T5_T6_T7_T9_mT8_P12ihipStream_tbDpT10_ENKUlT_T0_E_clISt17integral_constantIbLb0EES19_EEDaS14_S15_EUlS14_E_NS1_11comp_targetILNS1_3genE0ELNS1_11target_archE4294967295ELNS1_3gpuE0ELNS1_3repE0EEENS1_30default_config_static_selectorELNS0_4arch9wavefront6targetE1EEEvT1_
	.globl	_ZN7rocprim17ROCPRIM_400000_NS6detail17trampoline_kernelINS0_14default_configENS1_25partition_config_selectorILNS1_17partition_subalgoE9EllbEEZZNS1_14partition_implILS5_9ELb0ES3_jPKlN6thrust23THRUST_200600_302600_NS17counting_iteratorIlNSB_11use_defaultESD_SD_EEPNS0_10empty_typeENS0_5tupleIJPlSF_EEENSH_IJSI_SG_EEENS0_18inequality_wrapperIN6hipcub16HIPCUB_304000_NS8EqualityEEESI_JSF_EEE10hipError_tPvRmT3_T4_T5_T6_T7_T9_mT8_P12ihipStream_tbDpT10_ENKUlT_T0_E_clISt17integral_constantIbLb0EES19_EEDaS14_S15_EUlS14_E_NS1_11comp_targetILNS1_3genE0ELNS1_11target_archE4294967295ELNS1_3gpuE0ELNS1_3repE0EEENS1_30default_config_static_selectorELNS0_4arch9wavefront6targetE1EEEvT1_
	.p2align	8
	.type	_ZN7rocprim17ROCPRIM_400000_NS6detail17trampoline_kernelINS0_14default_configENS1_25partition_config_selectorILNS1_17partition_subalgoE9EllbEEZZNS1_14partition_implILS5_9ELb0ES3_jPKlN6thrust23THRUST_200600_302600_NS17counting_iteratorIlNSB_11use_defaultESD_SD_EEPNS0_10empty_typeENS0_5tupleIJPlSF_EEENSH_IJSI_SG_EEENS0_18inequality_wrapperIN6hipcub16HIPCUB_304000_NS8EqualityEEESI_JSF_EEE10hipError_tPvRmT3_T4_T5_T6_T7_T9_mT8_P12ihipStream_tbDpT10_ENKUlT_T0_E_clISt17integral_constantIbLb0EES19_EEDaS14_S15_EUlS14_E_NS1_11comp_targetILNS1_3genE0ELNS1_11target_archE4294967295ELNS1_3gpuE0ELNS1_3repE0EEENS1_30default_config_static_selectorELNS0_4arch9wavefront6targetE1EEEvT1_,@function
_ZN7rocprim17ROCPRIM_400000_NS6detail17trampoline_kernelINS0_14default_configENS1_25partition_config_selectorILNS1_17partition_subalgoE9EllbEEZZNS1_14partition_implILS5_9ELb0ES3_jPKlN6thrust23THRUST_200600_302600_NS17counting_iteratorIlNSB_11use_defaultESD_SD_EEPNS0_10empty_typeENS0_5tupleIJPlSF_EEENSH_IJSI_SG_EEENS0_18inequality_wrapperIN6hipcub16HIPCUB_304000_NS8EqualityEEESI_JSF_EEE10hipError_tPvRmT3_T4_T5_T6_T7_T9_mT8_P12ihipStream_tbDpT10_ENKUlT_T0_E_clISt17integral_constantIbLb0EES19_EEDaS14_S15_EUlS14_E_NS1_11comp_targetILNS1_3genE0ELNS1_11target_archE4294967295ELNS1_3gpuE0ELNS1_3repE0EEENS1_30default_config_static_selectorELNS0_4arch9wavefront6targetE1EEEvT1_: ; @_ZN7rocprim17ROCPRIM_400000_NS6detail17trampoline_kernelINS0_14default_configENS1_25partition_config_selectorILNS1_17partition_subalgoE9EllbEEZZNS1_14partition_implILS5_9ELb0ES3_jPKlN6thrust23THRUST_200600_302600_NS17counting_iteratorIlNSB_11use_defaultESD_SD_EEPNS0_10empty_typeENS0_5tupleIJPlSF_EEENSH_IJSI_SG_EEENS0_18inequality_wrapperIN6hipcub16HIPCUB_304000_NS8EqualityEEESI_JSF_EEE10hipError_tPvRmT3_T4_T5_T6_T7_T9_mT8_P12ihipStream_tbDpT10_ENKUlT_T0_E_clISt17integral_constantIbLb0EES19_EEDaS14_S15_EUlS14_E_NS1_11comp_targetILNS1_3genE0ELNS1_11target_archE4294967295ELNS1_3gpuE0ELNS1_3repE0EEENS1_30default_config_static_selectorELNS0_4arch9wavefront6targetE1EEEvT1_
; %bb.0:
	.section	.rodata,"a",@progbits
	.p2align	6, 0x0
	.amdhsa_kernel _ZN7rocprim17ROCPRIM_400000_NS6detail17trampoline_kernelINS0_14default_configENS1_25partition_config_selectorILNS1_17partition_subalgoE9EllbEEZZNS1_14partition_implILS5_9ELb0ES3_jPKlN6thrust23THRUST_200600_302600_NS17counting_iteratorIlNSB_11use_defaultESD_SD_EEPNS0_10empty_typeENS0_5tupleIJPlSF_EEENSH_IJSI_SG_EEENS0_18inequality_wrapperIN6hipcub16HIPCUB_304000_NS8EqualityEEESI_JSF_EEE10hipError_tPvRmT3_T4_T5_T6_T7_T9_mT8_P12ihipStream_tbDpT10_ENKUlT_T0_E_clISt17integral_constantIbLb0EES19_EEDaS14_S15_EUlS14_E_NS1_11comp_targetILNS1_3genE0ELNS1_11target_archE4294967295ELNS1_3gpuE0ELNS1_3repE0EEENS1_30default_config_static_selectorELNS0_4arch9wavefront6targetE1EEEvT1_
		.amdhsa_group_segment_fixed_size 0
		.amdhsa_private_segment_fixed_size 0
		.amdhsa_kernarg_size 112
		.amdhsa_user_sgpr_count 6
		.amdhsa_user_sgpr_private_segment_buffer 1
		.amdhsa_user_sgpr_dispatch_ptr 0
		.amdhsa_user_sgpr_queue_ptr 0
		.amdhsa_user_sgpr_kernarg_segment_ptr 1
		.amdhsa_user_sgpr_dispatch_id 0
		.amdhsa_user_sgpr_flat_scratch_init 0
		.amdhsa_user_sgpr_kernarg_preload_length 0
		.amdhsa_user_sgpr_kernarg_preload_offset 0
		.amdhsa_user_sgpr_private_segment_size 0
		.amdhsa_uses_dynamic_stack 0
		.amdhsa_system_sgpr_private_segment_wavefront_offset 0
		.amdhsa_system_sgpr_workgroup_id_x 1
		.amdhsa_system_sgpr_workgroup_id_y 0
		.amdhsa_system_sgpr_workgroup_id_z 0
		.amdhsa_system_sgpr_workgroup_info 0
		.amdhsa_system_vgpr_workitem_id 0
		.amdhsa_next_free_vgpr 1
		.amdhsa_next_free_sgpr 0
		.amdhsa_accum_offset 4
		.amdhsa_reserve_vcc 0
		.amdhsa_reserve_flat_scratch 0
		.amdhsa_float_round_mode_32 0
		.amdhsa_float_round_mode_16_64 0
		.amdhsa_float_denorm_mode_32 3
		.amdhsa_float_denorm_mode_16_64 3
		.amdhsa_dx10_clamp 1
		.amdhsa_ieee_mode 1
		.amdhsa_fp16_overflow 0
		.amdhsa_tg_split 0
		.amdhsa_exception_fp_ieee_invalid_op 0
		.amdhsa_exception_fp_denorm_src 0
		.amdhsa_exception_fp_ieee_div_zero 0
		.amdhsa_exception_fp_ieee_overflow 0
		.amdhsa_exception_fp_ieee_underflow 0
		.amdhsa_exception_fp_ieee_inexact 0
		.amdhsa_exception_int_div_zero 0
	.end_amdhsa_kernel
	.section	.text._ZN7rocprim17ROCPRIM_400000_NS6detail17trampoline_kernelINS0_14default_configENS1_25partition_config_selectorILNS1_17partition_subalgoE9EllbEEZZNS1_14partition_implILS5_9ELb0ES3_jPKlN6thrust23THRUST_200600_302600_NS17counting_iteratorIlNSB_11use_defaultESD_SD_EEPNS0_10empty_typeENS0_5tupleIJPlSF_EEENSH_IJSI_SG_EEENS0_18inequality_wrapperIN6hipcub16HIPCUB_304000_NS8EqualityEEESI_JSF_EEE10hipError_tPvRmT3_T4_T5_T6_T7_T9_mT8_P12ihipStream_tbDpT10_ENKUlT_T0_E_clISt17integral_constantIbLb0EES19_EEDaS14_S15_EUlS14_E_NS1_11comp_targetILNS1_3genE0ELNS1_11target_archE4294967295ELNS1_3gpuE0ELNS1_3repE0EEENS1_30default_config_static_selectorELNS0_4arch9wavefront6targetE1EEEvT1_,"axG",@progbits,_ZN7rocprim17ROCPRIM_400000_NS6detail17trampoline_kernelINS0_14default_configENS1_25partition_config_selectorILNS1_17partition_subalgoE9EllbEEZZNS1_14partition_implILS5_9ELb0ES3_jPKlN6thrust23THRUST_200600_302600_NS17counting_iteratorIlNSB_11use_defaultESD_SD_EEPNS0_10empty_typeENS0_5tupleIJPlSF_EEENSH_IJSI_SG_EEENS0_18inequality_wrapperIN6hipcub16HIPCUB_304000_NS8EqualityEEESI_JSF_EEE10hipError_tPvRmT3_T4_T5_T6_T7_T9_mT8_P12ihipStream_tbDpT10_ENKUlT_T0_E_clISt17integral_constantIbLb0EES19_EEDaS14_S15_EUlS14_E_NS1_11comp_targetILNS1_3genE0ELNS1_11target_archE4294967295ELNS1_3gpuE0ELNS1_3repE0EEENS1_30default_config_static_selectorELNS0_4arch9wavefront6targetE1EEEvT1_,comdat
.Lfunc_end44:
	.size	_ZN7rocprim17ROCPRIM_400000_NS6detail17trampoline_kernelINS0_14default_configENS1_25partition_config_selectorILNS1_17partition_subalgoE9EllbEEZZNS1_14partition_implILS5_9ELb0ES3_jPKlN6thrust23THRUST_200600_302600_NS17counting_iteratorIlNSB_11use_defaultESD_SD_EEPNS0_10empty_typeENS0_5tupleIJPlSF_EEENSH_IJSI_SG_EEENS0_18inequality_wrapperIN6hipcub16HIPCUB_304000_NS8EqualityEEESI_JSF_EEE10hipError_tPvRmT3_T4_T5_T6_T7_T9_mT8_P12ihipStream_tbDpT10_ENKUlT_T0_E_clISt17integral_constantIbLb0EES19_EEDaS14_S15_EUlS14_E_NS1_11comp_targetILNS1_3genE0ELNS1_11target_archE4294967295ELNS1_3gpuE0ELNS1_3repE0EEENS1_30default_config_static_selectorELNS0_4arch9wavefront6targetE1EEEvT1_, .Lfunc_end44-_ZN7rocprim17ROCPRIM_400000_NS6detail17trampoline_kernelINS0_14default_configENS1_25partition_config_selectorILNS1_17partition_subalgoE9EllbEEZZNS1_14partition_implILS5_9ELb0ES3_jPKlN6thrust23THRUST_200600_302600_NS17counting_iteratorIlNSB_11use_defaultESD_SD_EEPNS0_10empty_typeENS0_5tupleIJPlSF_EEENSH_IJSI_SG_EEENS0_18inequality_wrapperIN6hipcub16HIPCUB_304000_NS8EqualityEEESI_JSF_EEE10hipError_tPvRmT3_T4_T5_T6_T7_T9_mT8_P12ihipStream_tbDpT10_ENKUlT_T0_E_clISt17integral_constantIbLb0EES19_EEDaS14_S15_EUlS14_E_NS1_11comp_targetILNS1_3genE0ELNS1_11target_archE4294967295ELNS1_3gpuE0ELNS1_3repE0EEENS1_30default_config_static_selectorELNS0_4arch9wavefront6targetE1EEEvT1_
                                        ; -- End function
	.section	.AMDGPU.csdata,"",@progbits
; Kernel info:
; codeLenInByte = 0
; NumSgprs: 4
; NumVgprs: 0
; NumAgprs: 0
; TotalNumVgprs: 0
; ScratchSize: 0
; MemoryBound: 0
; FloatMode: 240
; IeeeMode: 1
; LDSByteSize: 0 bytes/workgroup (compile time only)
; SGPRBlocks: 0
; VGPRBlocks: 0
; NumSGPRsForWavesPerEU: 4
; NumVGPRsForWavesPerEU: 1
; AccumOffset: 4
; Occupancy: 8
; WaveLimiterHint : 0
; COMPUTE_PGM_RSRC2:SCRATCH_EN: 0
; COMPUTE_PGM_RSRC2:USER_SGPR: 6
; COMPUTE_PGM_RSRC2:TRAP_HANDLER: 0
; COMPUTE_PGM_RSRC2:TGID_X_EN: 1
; COMPUTE_PGM_RSRC2:TGID_Y_EN: 0
; COMPUTE_PGM_RSRC2:TGID_Z_EN: 0
; COMPUTE_PGM_RSRC2:TIDIG_COMP_CNT: 0
; COMPUTE_PGM_RSRC3_GFX90A:ACCUM_OFFSET: 0
; COMPUTE_PGM_RSRC3_GFX90A:TG_SPLIT: 0
	.section	.text._ZN7rocprim17ROCPRIM_400000_NS6detail17trampoline_kernelINS0_14default_configENS1_25partition_config_selectorILNS1_17partition_subalgoE9EllbEEZZNS1_14partition_implILS5_9ELb0ES3_jPKlN6thrust23THRUST_200600_302600_NS17counting_iteratorIlNSB_11use_defaultESD_SD_EEPNS0_10empty_typeENS0_5tupleIJPlSF_EEENSH_IJSI_SG_EEENS0_18inequality_wrapperIN6hipcub16HIPCUB_304000_NS8EqualityEEESI_JSF_EEE10hipError_tPvRmT3_T4_T5_T6_T7_T9_mT8_P12ihipStream_tbDpT10_ENKUlT_T0_E_clISt17integral_constantIbLb0EES19_EEDaS14_S15_EUlS14_E_NS1_11comp_targetILNS1_3genE5ELNS1_11target_archE942ELNS1_3gpuE9ELNS1_3repE0EEENS1_30default_config_static_selectorELNS0_4arch9wavefront6targetE1EEEvT1_,"axG",@progbits,_ZN7rocprim17ROCPRIM_400000_NS6detail17trampoline_kernelINS0_14default_configENS1_25partition_config_selectorILNS1_17partition_subalgoE9EllbEEZZNS1_14partition_implILS5_9ELb0ES3_jPKlN6thrust23THRUST_200600_302600_NS17counting_iteratorIlNSB_11use_defaultESD_SD_EEPNS0_10empty_typeENS0_5tupleIJPlSF_EEENSH_IJSI_SG_EEENS0_18inequality_wrapperIN6hipcub16HIPCUB_304000_NS8EqualityEEESI_JSF_EEE10hipError_tPvRmT3_T4_T5_T6_T7_T9_mT8_P12ihipStream_tbDpT10_ENKUlT_T0_E_clISt17integral_constantIbLb0EES19_EEDaS14_S15_EUlS14_E_NS1_11comp_targetILNS1_3genE5ELNS1_11target_archE942ELNS1_3gpuE9ELNS1_3repE0EEENS1_30default_config_static_selectorELNS0_4arch9wavefront6targetE1EEEvT1_,comdat
	.protected	_ZN7rocprim17ROCPRIM_400000_NS6detail17trampoline_kernelINS0_14default_configENS1_25partition_config_selectorILNS1_17partition_subalgoE9EllbEEZZNS1_14partition_implILS5_9ELb0ES3_jPKlN6thrust23THRUST_200600_302600_NS17counting_iteratorIlNSB_11use_defaultESD_SD_EEPNS0_10empty_typeENS0_5tupleIJPlSF_EEENSH_IJSI_SG_EEENS0_18inequality_wrapperIN6hipcub16HIPCUB_304000_NS8EqualityEEESI_JSF_EEE10hipError_tPvRmT3_T4_T5_T6_T7_T9_mT8_P12ihipStream_tbDpT10_ENKUlT_T0_E_clISt17integral_constantIbLb0EES19_EEDaS14_S15_EUlS14_E_NS1_11comp_targetILNS1_3genE5ELNS1_11target_archE942ELNS1_3gpuE9ELNS1_3repE0EEENS1_30default_config_static_selectorELNS0_4arch9wavefront6targetE1EEEvT1_ ; -- Begin function _ZN7rocprim17ROCPRIM_400000_NS6detail17trampoline_kernelINS0_14default_configENS1_25partition_config_selectorILNS1_17partition_subalgoE9EllbEEZZNS1_14partition_implILS5_9ELb0ES3_jPKlN6thrust23THRUST_200600_302600_NS17counting_iteratorIlNSB_11use_defaultESD_SD_EEPNS0_10empty_typeENS0_5tupleIJPlSF_EEENSH_IJSI_SG_EEENS0_18inequality_wrapperIN6hipcub16HIPCUB_304000_NS8EqualityEEESI_JSF_EEE10hipError_tPvRmT3_T4_T5_T6_T7_T9_mT8_P12ihipStream_tbDpT10_ENKUlT_T0_E_clISt17integral_constantIbLb0EES19_EEDaS14_S15_EUlS14_E_NS1_11comp_targetILNS1_3genE5ELNS1_11target_archE942ELNS1_3gpuE9ELNS1_3repE0EEENS1_30default_config_static_selectorELNS0_4arch9wavefront6targetE1EEEvT1_
	.globl	_ZN7rocprim17ROCPRIM_400000_NS6detail17trampoline_kernelINS0_14default_configENS1_25partition_config_selectorILNS1_17partition_subalgoE9EllbEEZZNS1_14partition_implILS5_9ELb0ES3_jPKlN6thrust23THRUST_200600_302600_NS17counting_iteratorIlNSB_11use_defaultESD_SD_EEPNS0_10empty_typeENS0_5tupleIJPlSF_EEENSH_IJSI_SG_EEENS0_18inequality_wrapperIN6hipcub16HIPCUB_304000_NS8EqualityEEESI_JSF_EEE10hipError_tPvRmT3_T4_T5_T6_T7_T9_mT8_P12ihipStream_tbDpT10_ENKUlT_T0_E_clISt17integral_constantIbLb0EES19_EEDaS14_S15_EUlS14_E_NS1_11comp_targetILNS1_3genE5ELNS1_11target_archE942ELNS1_3gpuE9ELNS1_3repE0EEENS1_30default_config_static_selectorELNS0_4arch9wavefront6targetE1EEEvT1_
	.p2align	8
	.type	_ZN7rocprim17ROCPRIM_400000_NS6detail17trampoline_kernelINS0_14default_configENS1_25partition_config_selectorILNS1_17partition_subalgoE9EllbEEZZNS1_14partition_implILS5_9ELb0ES3_jPKlN6thrust23THRUST_200600_302600_NS17counting_iteratorIlNSB_11use_defaultESD_SD_EEPNS0_10empty_typeENS0_5tupleIJPlSF_EEENSH_IJSI_SG_EEENS0_18inequality_wrapperIN6hipcub16HIPCUB_304000_NS8EqualityEEESI_JSF_EEE10hipError_tPvRmT3_T4_T5_T6_T7_T9_mT8_P12ihipStream_tbDpT10_ENKUlT_T0_E_clISt17integral_constantIbLb0EES19_EEDaS14_S15_EUlS14_E_NS1_11comp_targetILNS1_3genE5ELNS1_11target_archE942ELNS1_3gpuE9ELNS1_3repE0EEENS1_30default_config_static_selectorELNS0_4arch9wavefront6targetE1EEEvT1_,@function
_ZN7rocprim17ROCPRIM_400000_NS6detail17trampoline_kernelINS0_14default_configENS1_25partition_config_selectorILNS1_17partition_subalgoE9EllbEEZZNS1_14partition_implILS5_9ELb0ES3_jPKlN6thrust23THRUST_200600_302600_NS17counting_iteratorIlNSB_11use_defaultESD_SD_EEPNS0_10empty_typeENS0_5tupleIJPlSF_EEENSH_IJSI_SG_EEENS0_18inequality_wrapperIN6hipcub16HIPCUB_304000_NS8EqualityEEESI_JSF_EEE10hipError_tPvRmT3_T4_T5_T6_T7_T9_mT8_P12ihipStream_tbDpT10_ENKUlT_T0_E_clISt17integral_constantIbLb0EES19_EEDaS14_S15_EUlS14_E_NS1_11comp_targetILNS1_3genE5ELNS1_11target_archE942ELNS1_3gpuE9ELNS1_3repE0EEENS1_30default_config_static_selectorELNS0_4arch9wavefront6targetE1EEEvT1_: ; @_ZN7rocprim17ROCPRIM_400000_NS6detail17trampoline_kernelINS0_14default_configENS1_25partition_config_selectorILNS1_17partition_subalgoE9EllbEEZZNS1_14partition_implILS5_9ELb0ES3_jPKlN6thrust23THRUST_200600_302600_NS17counting_iteratorIlNSB_11use_defaultESD_SD_EEPNS0_10empty_typeENS0_5tupleIJPlSF_EEENSH_IJSI_SG_EEENS0_18inequality_wrapperIN6hipcub16HIPCUB_304000_NS8EqualityEEESI_JSF_EEE10hipError_tPvRmT3_T4_T5_T6_T7_T9_mT8_P12ihipStream_tbDpT10_ENKUlT_T0_E_clISt17integral_constantIbLb0EES19_EEDaS14_S15_EUlS14_E_NS1_11comp_targetILNS1_3genE5ELNS1_11target_archE942ELNS1_3gpuE9ELNS1_3repE0EEENS1_30default_config_static_selectorELNS0_4arch9wavefront6targetE1EEEvT1_
; %bb.0:
	.section	.rodata,"a",@progbits
	.p2align	6, 0x0
	.amdhsa_kernel _ZN7rocprim17ROCPRIM_400000_NS6detail17trampoline_kernelINS0_14default_configENS1_25partition_config_selectorILNS1_17partition_subalgoE9EllbEEZZNS1_14partition_implILS5_9ELb0ES3_jPKlN6thrust23THRUST_200600_302600_NS17counting_iteratorIlNSB_11use_defaultESD_SD_EEPNS0_10empty_typeENS0_5tupleIJPlSF_EEENSH_IJSI_SG_EEENS0_18inequality_wrapperIN6hipcub16HIPCUB_304000_NS8EqualityEEESI_JSF_EEE10hipError_tPvRmT3_T4_T5_T6_T7_T9_mT8_P12ihipStream_tbDpT10_ENKUlT_T0_E_clISt17integral_constantIbLb0EES19_EEDaS14_S15_EUlS14_E_NS1_11comp_targetILNS1_3genE5ELNS1_11target_archE942ELNS1_3gpuE9ELNS1_3repE0EEENS1_30default_config_static_selectorELNS0_4arch9wavefront6targetE1EEEvT1_
		.amdhsa_group_segment_fixed_size 0
		.amdhsa_private_segment_fixed_size 0
		.amdhsa_kernarg_size 112
		.amdhsa_user_sgpr_count 6
		.amdhsa_user_sgpr_private_segment_buffer 1
		.amdhsa_user_sgpr_dispatch_ptr 0
		.amdhsa_user_sgpr_queue_ptr 0
		.amdhsa_user_sgpr_kernarg_segment_ptr 1
		.amdhsa_user_sgpr_dispatch_id 0
		.amdhsa_user_sgpr_flat_scratch_init 0
		.amdhsa_user_sgpr_kernarg_preload_length 0
		.amdhsa_user_sgpr_kernarg_preload_offset 0
		.amdhsa_user_sgpr_private_segment_size 0
		.amdhsa_uses_dynamic_stack 0
		.amdhsa_system_sgpr_private_segment_wavefront_offset 0
		.amdhsa_system_sgpr_workgroup_id_x 1
		.amdhsa_system_sgpr_workgroup_id_y 0
		.amdhsa_system_sgpr_workgroup_id_z 0
		.amdhsa_system_sgpr_workgroup_info 0
		.amdhsa_system_vgpr_workitem_id 0
		.amdhsa_next_free_vgpr 1
		.amdhsa_next_free_sgpr 0
		.amdhsa_accum_offset 4
		.amdhsa_reserve_vcc 0
		.amdhsa_reserve_flat_scratch 0
		.amdhsa_float_round_mode_32 0
		.amdhsa_float_round_mode_16_64 0
		.amdhsa_float_denorm_mode_32 3
		.amdhsa_float_denorm_mode_16_64 3
		.amdhsa_dx10_clamp 1
		.amdhsa_ieee_mode 1
		.amdhsa_fp16_overflow 0
		.amdhsa_tg_split 0
		.amdhsa_exception_fp_ieee_invalid_op 0
		.amdhsa_exception_fp_denorm_src 0
		.amdhsa_exception_fp_ieee_div_zero 0
		.amdhsa_exception_fp_ieee_overflow 0
		.amdhsa_exception_fp_ieee_underflow 0
		.amdhsa_exception_fp_ieee_inexact 0
		.amdhsa_exception_int_div_zero 0
	.end_amdhsa_kernel
	.section	.text._ZN7rocprim17ROCPRIM_400000_NS6detail17trampoline_kernelINS0_14default_configENS1_25partition_config_selectorILNS1_17partition_subalgoE9EllbEEZZNS1_14partition_implILS5_9ELb0ES3_jPKlN6thrust23THRUST_200600_302600_NS17counting_iteratorIlNSB_11use_defaultESD_SD_EEPNS0_10empty_typeENS0_5tupleIJPlSF_EEENSH_IJSI_SG_EEENS0_18inequality_wrapperIN6hipcub16HIPCUB_304000_NS8EqualityEEESI_JSF_EEE10hipError_tPvRmT3_T4_T5_T6_T7_T9_mT8_P12ihipStream_tbDpT10_ENKUlT_T0_E_clISt17integral_constantIbLb0EES19_EEDaS14_S15_EUlS14_E_NS1_11comp_targetILNS1_3genE5ELNS1_11target_archE942ELNS1_3gpuE9ELNS1_3repE0EEENS1_30default_config_static_selectorELNS0_4arch9wavefront6targetE1EEEvT1_,"axG",@progbits,_ZN7rocprim17ROCPRIM_400000_NS6detail17trampoline_kernelINS0_14default_configENS1_25partition_config_selectorILNS1_17partition_subalgoE9EllbEEZZNS1_14partition_implILS5_9ELb0ES3_jPKlN6thrust23THRUST_200600_302600_NS17counting_iteratorIlNSB_11use_defaultESD_SD_EEPNS0_10empty_typeENS0_5tupleIJPlSF_EEENSH_IJSI_SG_EEENS0_18inequality_wrapperIN6hipcub16HIPCUB_304000_NS8EqualityEEESI_JSF_EEE10hipError_tPvRmT3_T4_T5_T6_T7_T9_mT8_P12ihipStream_tbDpT10_ENKUlT_T0_E_clISt17integral_constantIbLb0EES19_EEDaS14_S15_EUlS14_E_NS1_11comp_targetILNS1_3genE5ELNS1_11target_archE942ELNS1_3gpuE9ELNS1_3repE0EEENS1_30default_config_static_selectorELNS0_4arch9wavefront6targetE1EEEvT1_,comdat
.Lfunc_end45:
	.size	_ZN7rocprim17ROCPRIM_400000_NS6detail17trampoline_kernelINS0_14default_configENS1_25partition_config_selectorILNS1_17partition_subalgoE9EllbEEZZNS1_14partition_implILS5_9ELb0ES3_jPKlN6thrust23THRUST_200600_302600_NS17counting_iteratorIlNSB_11use_defaultESD_SD_EEPNS0_10empty_typeENS0_5tupleIJPlSF_EEENSH_IJSI_SG_EEENS0_18inequality_wrapperIN6hipcub16HIPCUB_304000_NS8EqualityEEESI_JSF_EEE10hipError_tPvRmT3_T4_T5_T6_T7_T9_mT8_P12ihipStream_tbDpT10_ENKUlT_T0_E_clISt17integral_constantIbLb0EES19_EEDaS14_S15_EUlS14_E_NS1_11comp_targetILNS1_3genE5ELNS1_11target_archE942ELNS1_3gpuE9ELNS1_3repE0EEENS1_30default_config_static_selectorELNS0_4arch9wavefront6targetE1EEEvT1_, .Lfunc_end45-_ZN7rocprim17ROCPRIM_400000_NS6detail17trampoline_kernelINS0_14default_configENS1_25partition_config_selectorILNS1_17partition_subalgoE9EllbEEZZNS1_14partition_implILS5_9ELb0ES3_jPKlN6thrust23THRUST_200600_302600_NS17counting_iteratorIlNSB_11use_defaultESD_SD_EEPNS0_10empty_typeENS0_5tupleIJPlSF_EEENSH_IJSI_SG_EEENS0_18inequality_wrapperIN6hipcub16HIPCUB_304000_NS8EqualityEEESI_JSF_EEE10hipError_tPvRmT3_T4_T5_T6_T7_T9_mT8_P12ihipStream_tbDpT10_ENKUlT_T0_E_clISt17integral_constantIbLb0EES19_EEDaS14_S15_EUlS14_E_NS1_11comp_targetILNS1_3genE5ELNS1_11target_archE942ELNS1_3gpuE9ELNS1_3repE0EEENS1_30default_config_static_selectorELNS0_4arch9wavefront6targetE1EEEvT1_
                                        ; -- End function
	.section	.AMDGPU.csdata,"",@progbits
; Kernel info:
; codeLenInByte = 0
; NumSgprs: 4
; NumVgprs: 0
; NumAgprs: 0
; TotalNumVgprs: 0
; ScratchSize: 0
; MemoryBound: 0
; FloatMode: 240
; IeeeMode: 1
; LDSByteSize: 0 bytes/workgroup (compile time only)
; SGPRBlocks: 0
; VGPRBlocks: 0
; NumSGPRsForWavesPerEU: 4
; NumVGPRsForWavesPerEU: 1
; AccumOffset: 4
; Occupancy: 8
; WaveLimiterHint : 0
; COMPUTE_PGM_RSRC2:SCRATCH_EN: 0
; COMPUTE_PGM_RSRC2:USER_SGPR: 6
; COMPUTE_PGM_RSRC2:TRAP_HANDLER: 0
; COMPUTE_PGM_RSRC2:TGID_X_EN: 1
; COMPUTE_PGM_RSRC2:TGID_Y_EN: 0
; COMPUTE_PGM_RSRC2:TGID_Z_EN: 0
; COMPUTE_PGM_RSRC2:TIDIG_COMP_CNT: 0
; COMPUTE_PGM_RSRC3_GFX90A:ACCUM_OFFSET: 0
; COMPUTE_PGM_RSRC3_GFX90A:TG_SPLIT: 0
	.section	.text._ZN7rocprim17ROCPRIM_400000_NS6detail17trampoline_kernelINS0_14default_configENS1_25partition_config_selectorILNS1_17partition_subalgoE9EllbEEZZNS1_14partition_implILS5_9ELb0ES3_jPKlN6thrust23THRUST_200600_302600_NS17counting_iteratorIlNSB_11use_defaultESD_SD_EEPNS0_10empty_typeENS0_5tupleIJPlSF_EEENSH_IJSI_SG_EEENS0_18inequality_wrapperIN6hipcub16HIPCUB_304000_NS8EqualityEEESI_JSF_EEE10hipError_tPvRmT3_T4_T5_T6_T7_T9_mT8_P12ihipStream_tbDpT10_ENKUlT_T0_E_clISt17integral_constantIbLb0EES19_EEDaS14_S15_EUlS14_E_NS1_11comp_targetILNS1_3genE4ELNS1_11target_archE910ELNS1_3gpuE8ELNS1_3repE0EEENS1_30default_config_static_selectorELNS0_4arch9wavefront6targetE1EEEvT1_,"axG",@progbits,_ZN7rocprim17ROCPRIM_400000_NS6detail17trampoline_kernelINS0_14default_configENS1_25partition_config_selectorILNS1_17partition_subalgoE9EllbEEZZNS1_14partition_implILS5_9ELb0ES3_jPKlN6thrust23THRUST_200600_302600_NS17counting_iteratorIlNSB_11use_defaultESD_SD_EEPNS0_10empty_typeENS0_5tupleIJPlSF_EEENSH_IJSI_SG_EEENS0_18inequality_wrapperIN6hipcub16HIPCUB_304000_NS8EqualityEEESI_JSF_EEE10hipError_tPvRmT3_T4_T5_T6_T7_T9_mT8_P12ihipStream_tbDpT10_ENKUlT_T0_E_clISt17integral_constantIbLb0EES19_EEDaS14_S15_EUlS14_E_NS1_11comp_targetILNS1_3genE4ELNS1_11target_archE910ELNS1_3gpuE8ELNS1_3repE0EEENS1_30default_config_static_selectorELNS0_4arch9wavefront6targetE1EEEvT1_,comdat
	.protected	_ZN7rocprim17ROCPRIM_400000_NS6detail17trampoline_kernelINS0_14default_configENS1_25partition_config_selectorILNS1_17partition_subalgoE9EllbEEZZNS1_14partition_implILS5_9ELb0ES3_jPKlN6thrust23THRUST_200600_302600_NS17counting_iteratorIlNSB_11use_defaultESD_SD_EEPNS0_10empty_typeENS0_5tupleIJPlSF_EEENSH_IJSI_SG_EEENS0_18inequality_wrapperIN6hipcub16HIPCUB_304000_NS8EqualityEEESI_JSF_EEE10hipError_tPvRmT3_T4_T5_T6_T7_T9_mT8_P12ihipStream_tbDpT10_ENKUlT_T0_E_clISt17integral_constantIbLb0EES19_EEDaS14_S15_EUlS14_E_NS1_11comp_targetILNS1_3genE4ELNS1_11target_archE910ELNS1_3gpuE8ELNS1_3repE0EEENS1_30default_config_static_selectorELNS0_4arch9wavefront6targetE1EEEvT1_ ; -- Begin function _ZN7rocprim17ROCPRIM_400000_NS6detail17trampoline_kernelINS0_14default_configENS1_25partition_config_selectorILNS1_17partition_subalgoE9EllbEEZZNS1_14partition_implILS5_9ELb0ES3_jPKlN6thrust23THRUST_200600_302600_NS17counting_iteratorIlNSB_11use_defaultESD_SD_EEPNS0_10empty_typeENS0_5tupleIJPlSF_EEENSH_IJSI_SG_EEENS0_18inequality_wrapperIN6hipcub16HIPCUB_304000_NS8EqualityEEESI_JSF_EEE10hipError_tPvRmT3_T4_T5_T6_T7_T9_mT8_P12ihipStream_tbDpT10_ENKUlT_T0_E_clISt17integral_constantIbLb0EES19_EEDaS14_S15_EUlS14_E_NS1_11comp_targetILNS1_3genE4ELNS1_11target_archE910ELNS1_3gpuE8ELNS1_3repE0EEENS1_30default_config_static_selectorELNS0_4arch9wavefront6targetE1EEEvT1_
	.globl	_ZN7rocprim17ROCPRIM_400000_NS6detail17trampoline_kernelINS0_14default_configENS1_25partition_config_selectorILNS1_17partition_subalgoE9EllbEEZZNS1_14partition_implILS5_9ELb0ES3_jPKlN6thrust23THRUST_200600_302600_NS17counting_iteratorIlNSB_11use_defaultESD_SD_EEPNS0_10empty_typeENS0_5tupleIJPlSF_EEENSH_IJSI_SG_EEENS0_18inequality_wrapperIN6hipcub16HIPCUB_304000_NS8EqualityEEESI_JSF_EEE10hipError_tPvRmT3_T4_T5_T6_T7_T9_mT8_P12ihipStream_tbDpT10_ENKUlT_T0_E_clISt17integral_constantIbLb0EES19_EEDaS14_S15_EUlS14_E_NS1_11comp_targetILNS1_3genE4ELNS1_11target_archE910ELNS1_3gpuE8ELNS1_3repE0EEENS1_30default_config_static_selectorELNS0_4arch9wavefront6targetE1EEEvT1_
	.p2align	8
	.type	_ZN7rocprim17ROCPRIM_400000_NS6detail17trampoline_kernelINS0_14default_configENS1_25partition_config_selectorILNS1_17partition_subalgoE9EllbEEZZNS1_14partition_implILS5_9ELb0ES3_jPKlN6thrust23THRUST_200600_302600_NS17counting_iteratorIlNSB_11use_defaultESD_SD_EEPNS0_10empty_typeENS0_5tupleIJPlSF_EEENSH_IJSI_SG_EEENS0_18inequality_wrapperIN6hipcub16HIPCUB_304000_NS8EqualityEEESI_JSF_EEE10hipError_tPvRmT3_T4_T5_T6_T7_T9_mT8_P12ihipStream_tbDpT10_ENKUlT_T0_E_clISt17integral_constantIbLb0EES19_EEDaS14_S15_EUlS14_E_NS1_11comp_targetILNS1_3genE4ELNS1_11target_archE910ELNS1_3gpuE8ELNS1_3repE0EEENS1_30default_config_static_selectorELNS0_4arch9wavefront6targetE1EEEvT1_,@function
_ZN7rocprim17ROCPRIM_400000_NS6detail17trampoline_kernelINS0_14default_configENS1_25partition_config_selectorILNS1_17partition_subalgoE9EllbEEZZNS1_14partition_implILS5_9ELb0ES3_jPKlN6thrust23THRUST_200600_302600_NS17counting_iteratorIlNSB_11use_defaultESD_SD_EEPNS0_10empty_typeENS0_5tupleIJPlSF_EEENSH_IJSI_SG_EEENS0_18inequality_wrapperIN6hipcub16HIPCUB_304000_NS8EqualityEEESI_JSF_EEE10hipError_tPvRmT3_T4_T5_T6_T7_T9_mT8_P12ihipStream_tbDpT10_ENKUlT_T0_E_clISt17integral_constantIbLb0EES19_EEDaS14_S15_EUlS14_E_NS1_11comp_targetILNS1_3genE4ELNS1_11target_archE910ELNS1_3gpuE8ELNS1_3repE0EEENS1_30default_config_static_selectorELNS0_4arch9wavefront6targetE1EEEvT1_: ; @_ZN7rocprim17ROCPRIM_400000_NS6detail17trampoline_kernelINS0_14default_configENS1_25partition_config_selectorILNS1_17partition_subalgoE9EllbEEZZNS1_14partition_implILS5_9ELb0ES3_jPKlN6thrust23THRUST_200600_302600_NS17counting_iteratorIlNSB_11use_defaultESD_SD_EEPNS0_10empty_typeENS0_5tupleIJPlSF_EEENSH_IJSI_SG_EEENS0_18inequality_wrapperIN6hipcub16HIPCUB_304000_NS8EqualityEEESI_JSF_EEE10hipError_tPvRmT3_T4_T5_T6_T7_T9_mT8_P12ihipStream_tbDpT10_ENKUlT_T0_E_clISt17integral_constantIbLb0EES19_EEDaS14_S15_EUlS14_E_NS1_11comp_targetILNS1_3genE4ELNS1_11target_archE910ELNS1_3gpuE8ELNS1_3repE0EEENS1_30default_config_static_selectorELNS0_4arch9wavefront6targetE1EEEvT1_
; %bb.0:
	s_load_dwordx2 s[14:15], s[4:5], 0x50
	s_load_dwordx4 s[20:23], s[4:5], 0x40
	s_load_dwordx4 s[0:3], s[4:5], 0x8
	s_load_dwordx2 s[10:11], s[4:5], 0x18
	s_load_dword s13, s[4:5], 0x68
	s_waitcnt lgkmcnt(0)
	v_mov_b32_e32 v3, s15
	v_mov_b32_e32 v2, s14
	s_lshl_b64 s[8:9], s[2:3], 3
	s_add_u32 s15, s0, s8
	s_addc_u32 s24, s1, s9
	s_add_i32 s8, s13, -1
	s_lshl_b32 s0, s8, 9
	s_lshl_b32 s12, s6, 9
	s_add_i32 s7, s2, s0
	s_lshl_b32 s0, s13, 9
	s_add_u32 s0, s2, s0
	s_addc_u32 s1, s3, 0
	s_cmp_eq_u32 s6, s8
	s_load_dwordx2 s[18:19], s[22:23], 0x0
	v_cmp_ge_u64_e32 vcc, s[0:1], v[2:3]
	s_cselect_b64 s[22:23], -1, 0
	s_mov_b32 s13, 0
	s_and_b64 s[8:9], s[22:23], vcc
	s_xor_b64 s[28:29], s[8:9], -1
	s_lshl_b64 s[0:1], s[12:13], 3
	s_add_u32 s0, s15, s0
	s_mov_b64 s[16:17], -1
	s_addc_u32 s1, s24, s1
	s_and_b64 vcc, exec, s[28:29]
	v_lshrrev_b32_e32 v1, 2, v0
	s_cbranch_vccz .LBB46_2
; %bb.1:
	v_lshlrev_b32_e32 v10, 3, v0
	global_load_dwordx2 v[2:3], v10, s[0:1]
	global_load_dwordx2 v[4:5], v10, s[0:1] offset:1024
	global_load_dwordx2 v[6:7], v10, s[0:1] offset:2048
	;; [unrolled: 1-line block ×3, first 2 shown]
	v_or_b32_e32 v12, 0x80, v0
	v_or_b32_e32 v13, 0x100, v0
	;; [unrolled: 1-line block ×3, first 2 shown]
	v_and_b32_e32 v11, 24, v1
	v_lshrrev_b32_e32 v12, 2, v12
	v_lshrrev_b32_e32 v13, 2, v13
	;; [unrolled: 1-line block ×3, first 2 shown]
	v_add_u32_e32 v11, v11, v10
	v_and_b32_e32 v12, 56, v12
	v_and_b32_e32 v13, 0x58, v13
	v_and_b32_e32 v14, 0x78, v14
	v_mov_b32_e32 v19, 0
	v_add_u32_e32 v12, v12, v10
	v_add_u32_e32 v13, v13, v10
	;; [unrolled: 1-line block ×3, first 2 shown]
	s_waitcnt vmcnt(3)
	ds_write_b64 v11, v[2:3]
	s_waitcnt vmcnt(2)
	ds_write_b64 v12, v[4:5] offset:1024
	s_waitcnt vmcnt(1)
	ds_write_b64 v13, v[6:7] offset:2048
	;; [unrolled: 2-line block ×3, first 2 shown]
	s_waitcnt lgkmcnt(0)
	s_barrier
	s_load_dwordx2 s[30:31], s[4:5], 0x60
	s_sub_i32 s7, s14, s7
	s_cbranch_execz .LBB46_3
	s_branch .LBB46_14
.LBB46_2:
                                        ; implicit-def: $vgpr18_vgpr19
	s_load_dwordx2 s[30:31], s[4:5], 0x60
	s_andn2_b64 vcc, exec, s[16:17]
	s_sub_i32 s7, s14, s7
	s_cbranch_vccnz .LBB46_14
.LBB46_3:
	v_cmp_gt_u32_e32 vcc, s7, v0
                                        ; implicit-def: $vgpr2_vgpr3_vgpr4_vgpr5_vgpr6_vgpr7_vgpr8_vgpr9
	s_and_saveexec_b64 s[14:15], vcc
	s_cbranch_execz .LBB46_5
; %bb.4:
	v_lshlrev_b32_e32 v2, 3, v0
	global_load_dwordx2 v[2:3], v2, s[0:1]
.LBB46_5:
	s_or_b64 exec, exec, s[14:15]
	v_or_b32_e32 v10, 0x80, v0
	v_cmp_gt_u32_e32 vcc, s7, v10
	s_and_saveexec_b64 s[14:15], vcc
	s_cbranch_execz .LBB46_7
; %bb.6:
	v_lshlrev_b32_e32 v4, 3, v0
	global_load_dwordx2 v[4:5], v4, s[0:1] offset:1024
.LBB46_7:
	s_or_b64 exec, exec, s[14:15]
	v_or_b32_e32 v11, 0x100, v0
	v_cmp_gt_u32_e32 vcc, s7, v11
	s_and_saveexec_b64 s[14:15], vcc
	s_cbranch_execz .LBB46_9
; %bb.8:
	v_lshlrev_b32_e32 v6, 3, v0
	global_load_dwordx2 v[6:7], v6, s[0:1] offset:2048
.LBB46_9:
	s_or_b64 exec, exec, s[14:15]
	v_or_b32_e32 v12, 0x180, v0
	v_cmp_le_u32_e32 vcc, s7, v12
	s_and_saveexec_b64 s[14:15], vcc
	s_xor_b64 s[14:15], exec, s[14:15]
                                        ; implicit-def: $vgpr18_vgpr19
; %bb.10:
	v_mov_b32_e32 v19, 0
; %bb.11:
	s_andn2_saveexec_b64 s[14:15], s[14:15]
	s_cbranch_execz .LBB46_13
; %bb.12:
	v_lshlrev_b32_e32 v8, 3, v0
	global_load_dwordx2 v[8:9], v8, s[0:1] offset:3072
	v_mov_b32_e32 v19, 0
.LBB46_13:
	s_or_b64 exec, exec, s[14:15]
	v_and_b32_e32 v13, 24, v1
	v_lshlrev_b32_e32 v14, 3, v0
	v_add_u32_e32 v13, v13, v14
	s_waitcnt vmcnt(0)
	ds_write_b64 v13, v[2:3]
	v_lshrrev_b32_e32 v2, 2, v10
	v_and_b32_e32 v2, 56, v2
	v_add_u32_e32 v2, v2, v14
	ds_write_b64 v2, v[4:5] offset:1024
	v_lshrrev_b32_e32 v2, 2, v11
	v_and_b32_e32 v2, 0x78, v2
	v_add_u32_e32 v2, v2, v14
	ds_write_b64 v2, v[6:7] offset:2048
	;; [unrolled: 4-line block ×3, first 2 shown]
	s_waitcnt lgkmcnt(0)
	s_barrier
.LBB46_14:
	s_load_dwordx4 s[24:27], s[4:5], 0x28
	v_lshlrev_b32_e32 v29, 2, v0
	v_lshrrev_b32_e32 v2, 3, v0
	s_add_u32 s4, s2, s12
	v_add_lshl_u32 v4, v2, v29, 3
	s_addc_u32 s5, s3, 0
	s_waitcnt lgkmcnt(0)
	ds_read2_b64 v[14:17], v4 offset1:1
	ds_read2_b64 v[10:13], v4 offset0:2 offset1:3
	s_add_u32 s10, s4, s10
	s_addc_u32 s11, s5, s11
	v_mov_b32_e32 v3, s11
	v_add_co_u32_e32 v2, vcc, s10, v0
	v_addc_co_u32_e32 v3, vcc, v19, v3, vcc
	s_mov_b64 s[4:5], -1
	s_and_b64 vcc, exec, s[28:29]
	s_waitcnt lgkmcnt(0)
	s_barrier
	s_cbranch_vccz .LBB46_16
; %bb.15:
	v_and_b32_e32 v5, 24, v1
	v_lshlrev_b32_e32 v20, 3, v0
	v_add_u32_e32 v5, v5, v20
	ds_write_b64 v5, v[2:3]
	v_or_b32_e32 v5, 0x80, v0
	v_lshrrev_b32_e32 v5, 2, v5
	v_add_co_u32_e32 v6, vcc, 0x80, v2
	v_and_b32_e32 v5, 56, v5
	v_addc_co_u32_e32 v7, vcc, 0, v3, vcc
	v_add_u32_e32 v5, v5, v20
	ds_write_b64 v5, v[6:7] offset:1024
	v_or_b32_e32 v5, 0x100, v0
	v_lshrrev_b32_e32 v5, 2, v5
	v_add_co_u32_e32 v8, vcc, 0x100, v2
	v_and_b32_e32 v5, 0x58, v5
	v_addc_co_u32_e32 v9, vcc, 0, v3, vcc
	v_add_u32_e32 v5, v5, v20
	ds_write_b64 v5, v[8:9] offset:2048
	;; [unrolled: 7-line block ×3, first 2 shown]
	s_waitcnt lgkmcnt(0)
	s_barrier
	s_mov_b64 s[4:5], 0
.LBB46_16:
	s_andn2_b64 vcc, exec, s[4:5]
	s_cbranch_vccnz .LBB46_18
; %bb.17:
	v_and_b32_e32 v1, 24, v1
	v_lshlrev_b32_e32 v22, 3, v0
	v_or_b32_e32 v5, 0x80, v0
	v_add_u32_e32 v1, v1, v22
	ds_write_b64 v1, v[2:3]
	v_lshrrev_b32_e32 v1, 2, v5
	v_mov_b32_e32 v7, s11
	v_add_co_u32_e32 v6, vcc, s10, v5
	v_and_b32_e32 v1, 56, v1
	v_addc_co_u32_e32 v7, vcc, 0, v7, vcc
	v_or_b32_e32 v20, 0x100, v0
	v_add_u32_e32 v1, v1, v22
	ds_write_b64 v1, v[6:7] offset:1024
	v_lshrrev_b32_e32 v1, 2, v20
	v_mov_b32_e32 v9, s11
	v_add_co_u32_e32 v8, vcc, s10, v20
	v_and_b32_e32 v1, 0x58, v1
	v_addc_co_u32_e32 v9, vcc, 0, v9, vcc
	v_or_b32_e32 v21, 0x180, v0
	v_add_u32_e32 v1, v1, v22
	ds_write_b64 v1, v[8:9] offset:2048
	v_lshrrev_b32_e32 v1, 2, v21
	v_mov_b32_e32 v19, s11
	v_add_co_u32_e32 v18, vcc, s10, v21
	v_and_b32_e32 v1, 0x78, v1
	v_addc_co_u32_e32 v19, vcc, 0, v19, vcc
	v_add_u32_e32 v1, v1, v22
	ds_write_b64 v1, v[18:19] offset:3072
	s_waitcnt lgkmcnt(0)
	s_barrier
.LBB46_18:
	ds_read2_b64 v[6:9], v4 offset1:1
	ds_read2_b64 v[2:5], v4 offset0:2 offset1:3
	s_cmp_lg_u32 s6, 0
	s_cselect_b64 s[14:15], -1, 0
	s_cmp_lg_u64 s[2:3], 0
	s_cselect_b64 s[2:3], -1, 0
	s_or_b64 s[2:3], s[14:15], s[2:3]
	s_mov_b64 s[10:11], 0
	s_and_b64 vcc, exec, s[2:3]
	s_waitcnt lgkmcnt(0)
	s_barrier
	s_cbranch_vccz .LBB46_23
; %bb.19:
	s_add_u32 s0, s0, -8
	s_addc_u32 s1, s1, -1
	s_load_dwordx2 s[2:3], s[0:1], 0x0
	v_lshlrev_b32_e32 v20, 3, v0
	s_and_b64 vcc, exec, s[28:29]
	ds_write_b64 v20, v[12:13]
	s_cbranch_vccz .LBB46_24
; %bb.20:
	v_cmp_ne_u32_e32 vcc, 0, v0
	s_waitcnt lgkmcnt(0)
	v_pk_mov_b32 v[18:19], s[2:3], s[2:3] op_sel:[0,1]
	s_barrier
	s_and_saveexec_b64 s[0:1], vcc
	s_cbranch_execz .LBB46_22
; %bb.21:
	v_add_u32_e32 v1, -8, v20
	ds_read_b64 v[18:19], v1
.LBB46_22:
	s_or_b64 exec, exec, s[0:1]
	v_cmp_ne_u64_e32 vcc, v[10:11], v[12:13]
	v_cndmask_b32_e64 v1, 0, 1, vcc
	v_cmp_ne_u64_e32 vcc, v[16:17], v[10:11]
	v_cndmask_b32_e64 v21, 0, 1, vcc
	;; [unrolled: 2-line block ×3, first 2 shown]
	v_lshlrev_b16_e32 v1, 8, v1
	v_or_b32_sdwa v1, v21, v1 dst_sel:WORD_1 dst_unused:UNUSED_PAD src0_sel:DWORD src1_sel:DWORD
	v_lshlrev_b16_e32 v21, 8, v22
	v_or_b32_e32 v1, v21, v1
	s_waitcnt lgkmcnt(0)
	v_cmp_ne_u64_e64 s[0:1], v[18:19], v[14:15]
	s_branch .LBB46_28
.LBB46_23:
                                        ; implicit-def: $sgpr0_sgpr1
                                        ; implicit-def: $vgpr1
	s_branch .LBB46_29
.LBB46_24:
                                        ; implicit-def: $sgpr0_sgpr1
                                        ; implicit-def: $vgpr1
	s_cbranch_execz .LBB46_28
; %bb.25:
	v_cmp_ne_u32_e32 vcc, 0, v0
	s_waitcnt lgkmcnt(0)
	v_pk_mov_b32 v[18:19], s[2:3], s[2:3] op_sel:[0,1]
	s_barrier
	s_and_saveexec_b64 s[0:1], vcc
	s_cbranch_execz .LBB46_27
; %bb.26:
	v_add_u32_e32 v1, -8, v20
	ds_read_b64 v[18:19], v1
.LBB46_27:
	s_or_b64 exec, exec, s[0:1]
	v_or_b32_e32 v1, 3, v29
	v_cmp_gt_u32_e32 vcc, s7, v1
	v_cmp_ne_u64_e64 s[0:1], v[10:11], v[12:13]
	s_and_b64 s[0:1], vcc, s[0:1]
	v_or_b32_e32 v20, 2, v29
	v_cndmask_b32_e64 v1, 0, 1, s[0:1]
	v_cmp_gt_u32_e32 vcc, s7, v20
	v_cmp_ne_u64_e64 s[0:1], v[16:17], v[10:11]
	s_and_b64 s[0:1], vcc, s[0:1]
	v_or_b32_e32 v21, 1, v29
	v_cndmask_b32_e64 v20, 0, 1, s[0:1]
	v_cmp_gt_u32_e32 vcc, s7, v21
	v_cmp_ne_u64_e64 s[0:1], v[14:15], v[16:17]
	s_and_b64 s[0:1], vcc, s[0:1]
	v_cndmask_b32_e64 v21, 0, 1, s[0:1]
	v_lshlrev_b16_e32 v1, 8, v1
	v_or_b32_sdwa v1, v20, v1 dst_sel:WORD_1 dst_unused:UNUSED_PAD src0_sel:DWORD src1_sel:DWORD
	v_lshlrev_b16_e32 v20, 8, v21
	v_cmp_gt_u32_e32 vcc, s7, v29
	s_waitcnt lgkmcnt(0)
	v_cmp_ne_u64_e64 s[0:1], v[18:19], v[14:15]
	v_or_b32_e32 v1, v20, v1
	s_and_b64 s[0:1], vcc, s[0:1]
.LBB46_28:
	s_waitcnt lgkmcnt(0)
	s_mov_b64 s[10:11], -1
	s_cbranch_execnz .LBB46_37
.LBB46_29:
	v_lshlrev_b32_e32 v18, 3, v0
	s_and_b64 vcc, exec, s[28:29]
	v_cmp_ne_u64_e64 s[0:1], v[10:11], v[12:13]
	v_cmp_ne_u64_e64 s[2:3], v[16:17], v[10:11]
	;; [unrolled: 1-line block ×3, first 2 shown]
	ds_write_b64 v18, v[12:13]
	s_cbranch_vccz .LBB46_33
; %bb.30:
	v_cndmask_b32_e64 v1, 0, 1, s[0:1]
	v_cndmask_b32_e64 v19, 0, 1, s[2:3]
	v_cndmask_b32_e64 v20, 0, 1, s[4:5]
	v_lshlrev_b16_e32 v1, 8, v1
	v_or_b32_sdwa v1, v19, v1 dst_sel:WORD_1 dst_unused:UNUSED_PAD src0_sel:DWORD src1_sel:DWORD
	v_lshlrev_b16_e32 v19, 8, v20
	v_or_b32_e32 v19, 1, v19
	v_or_b32_sdwa v1, v19, v1 dst_sel:DWORD dst_unused:UNUSED_PAD src0_sel:WORD_0 src1_sel:DWORD
	v_cmp_ne_u32_e32 vcc, 0, v0
	s_waitcnt lgkmcnt(0)
	s_barrier
	s_waitcnt lgkmcnt(0)
                                        ; implicit-def: $sgpr0_sgpr1
	s_and_saveexec_b64 s[2:3], vcc
	s_xor_b64 s[2:3], exec, s[2:3]
	s_cbranch_execz .LBB46_32
; %bb.31:
	v_add_u32_e32 v19, -8, v18
	ds_read_b64 v[20:21], v19
	s_or_b64 s[10:11], s[10:11], exec
	s_waitcnt lgkmcnt(0)
	v_cmp_ne_u64_e32 vcc, v[20:21], v[14:15]
	s_and_b64 s[0:1], vcc, exec
.LBB46_32:
	s_or_b64 exec, exec, s[2:3]
	s_branch .LBB46_37
.LBB46_33:
                                        ; implicit-def: $sgpr0_sgpr1
                                        ; implicit-def: $vgpr1
	s_cbranch_execz .LBB46_37
; %bb.34:
	v_or_b32_e32 v1, 3, v29
	v_cmp_gt_u32_e32 vcc, s7, v1
	v_cmp_ne_u64_e64 s[0:1], v[10:11], v[12:13]
	s_and_b64 s[0:1], vcc, s[0:1]
	v_or_b32_e32 v19, 2, v29
	v_cndmask_b32_e64 v1, 0, 1, s[0:1]
	v_cmp_gt_u32_e32 vcc, s7, v19
	v_cmp_ne_u64_e64 s[0:1], v[16:17], v[10:11]
	s_and_b64 s[0:1], vcc, s[0:1]
	v_or_b32_e32 v20, 1, v29
	v_cndmask_b32_e64 v19, 0, 1, s[0:1]
	v_cmp_gt_u32_e32 vcc, s7, v20
	v_cmp_ne_u64_e64 s[0:1], v[14:15], v[16:17]
	s_and_b64 s[0:1], vcc, s[0:1]
	v_cndmask_b32_e64 v20, 0, 1, s[0:1]
	v_lshlrev_b16_e32 v1, 8, v1
	v_or_b32_sdwa v1, v19, v1 dst_sel:WORD_1 dst_unused:UNUSED_PAD src0_sel:DWORD src1_sel:DWORD
	v_lshlrev_b16_e32 v19, 8, v20
	v_or_b32_e32 v19, 1, v19
	v_or_b32_sdwa v1, v19, v1 dst_sel:DWORD dst_unused:UNUSED_PAD src0_sel:WORD_0 src1_sel:DWORD
	v_cmp_ne_u32_e32 vcc, 0, v0
	s_waitcnt lgkmcnt(0)
	s_barrier
	s_waitcnt lgkmcnt(0)
                                        ; implicit-def: $sgpr0_sgpr1
	s_and_saveexec_b64 s[2:3], vcc
	s_cbranch_execz .LBB46_36
; %bb.35:
	v_add_u32_e32 v18, -8, v18
	ds_read_b64 v[18:19], v18
	v_cmp_gt_u32_e32 vcc, s7, v29
	s_or_b64 s[10:11], s[10:11], exec
	s_waitcnt lgkmcnt(0)
	v_cmp_ne_u64_e64 s[0:1], v[18:19], v[14:15]
	s_and_b64 s[0:1], vcc, s[0:1]
	s_and_b64 s[0:1], s[0:1], exec
.LBB46_36:
	s_or_b64 exec, exec, s[2:3]
.LBB46_37:
	s_and_saveexec_b64 s[2:3], s[10:11]
; %bb.38:
	v_and_b32_e32 v18, 0xffffff00, v1
	v_cndmask_b32_e64 v19, 0, 1, s[0:1]
	v_or_b32_e32 v18, v19, v18
	v_and_b32_e32 v18, 0xffff, v18
	s_mov_b32 s0, 0xffff0000
	v_and_or_b32 v1, v1, s0, v18
; %bb.39:
	s_or_b64 exec, exec, s[2:3]
	s_andn2_b64 vcc, exec, s[8:9]
	s_cbranch_vccnz .LBB46_41
; %bb.40:
	v_cmp_gt_u32_e32 vcc, s7, v29
	v_cndmask_b32_e32 v18, 0, v1, vcc
	v_or_b32_e32 v19, 1, v29
	v_and_b32_e32 v18, 0xff, v18
	v_cmp_gt_u32_e32 vcc, s7, v19
	v_cndmask_b32_e32 v18, v18, v1, vcc
	v_or_b32_e32 v19, 2, v29
	v_and_b32_e32 v18, 0xffff, v18
	;; [unrolled: 4-line block ×3, first 2 shown]
	v_cmp_gt_u32_e32 vcc, s7, v19
	v_cndmask_b32_e32 v1, v18, v1, vcc
.LBB46_41:
	v_bfe_u32 v30, v1, 16, 8
	v_lshrrev_b32_e32 v28, 24, v1
	v_add_u32_sdwa v18, v1, v1 dst_sel:DWORD dst_unused:UNUSED_PAD src0_sel:BYTE_1 src1_sel:BYTE_0
	v_add3_u32 v33, v18, v30, v28
	v_mbcnt_lo_u32_b32 v18, -1, 0
	v_mbcnt_hi_u32_b32 v31, -1, v18
	v_and_b32_e32 v18, 15, v31
	v_cmp_eq_u32_e64 s[12:13], 0, v18
	v_cmp_lt_u32_e64 s[10:11], 1, v18
	v_cmp_lt_u32_e64 s[8:9], 3, v18
	;; [unrolled: 1-line block ×3, first 2 shown]
	v_and_b32_e32 v18, 16, v31
	v_cmp_eq_u32_e64 s[4:5], 0, v18
	v_or_b32_e32 v18, 63, v0
	v_cmp_lt_u32_e64 s[0:1], 31, v31
	v_lshrrev_b32_e32 v32, 6, v0
	v_cmp_eq_u32_e64 s[2:3], v18, v0
	s_and_b64 vcc, exec, s[14:15]
	s_waitcnt lgkmcnt(0)
	s_barrier
	s_cbranch_vccz .LBB46_68
; %bb.42:
	v_mov_b32_dpp v18, v33 row_shr:1 row_mask:0xf bank_mask:0xf
	v_cndmask_b32_e64 v18, v18, 0, s[12:13]
	v_add_u32_e32 v18, v18, v33
	s_nop 1
	v_mov_b32_dpp v19, v18 row_shr:2 row_mask:0xf bank_mask:0xf
	v_cndmask_b32_e64 v19, 0, v19, s[10:11]
	v_add_u32_e32 v18, v18, v19
	s_nop 1
	;; [unrolled: 4-line block ×4, first 2 shown]
	v_mov_b32_dpp v19, v18 row_bcast:15 row_mask:0xf bank_mask:0xf
	v_cndmask_b32_e64 v19, v19, 0, s[4:5]
	v_add_u32_e32 v18, v18, v19
	s_nop 1
	v_mov_b32_dpp v19, v18 row_bcast:31 row_mask:0xf bank_mask:0xf
	v_cndmask_b32_e64 v19, 0, v19, s[0:1]
	v_add_u32_e32 v18, v18, v19
	s_and_saveexec_b64 s[14:15], s[2:3]
	s_cbranch_execz .LBB46_44
; %bb.43:
	v_lshlrev_b32_e32 v19, 2, v32
	ds_write_b32 v19, v18
.LBB46_44:
	s_or_b64 exec, exec, s[14:15]
	v_cmp_gt_u32_e32 vcc, 2, v0
	s_waitcnt lgkmcnt(0)
	s_barrier
	s_and_saveexec_b64 s[14:15], vcc
	s_cbranch_execz .LBB46_46
; %bb.45:
	ds_read_b32 v19, v29
	v_bfe_i32 v20, v31, 0, 1
	s_waitcnt lgkmcnt(0)
	v_mov_b32_dpp v21, v19 row_shr:1 row_mask:0xf bank_mask:0xf
	v_and_b32_e32 v20, v20, v21
	v_add_u32_e32 v19, v20, v19
	ds_write_b32 v29, v19
.LBB46_46:
	s_or_b64 exec, exec, s[14:15]
	v_cmp_gt_u32_e32 vcc, 64, v0
	v_cmp_lt_u32_e64 s[14:15], 63, v0
	s_waitcnt lgkmcnt(0)
	s_barrier
	s_waitcnt lgkmcnt(0)
                                        ; implicit-def: $vgpr34
	s_and_saveexec_b64 s[34:35], s[14:15]
	s_cbranch_execz .LBB46_48
; %bb.47:
	v_lshl_add_u32 v19, v32, 2, -4
	ds_read_b32 v34, v19
	s_waitcnt lgkmcnt(0)
	v_add_u32_e32 v18, v34, v18
.LBB46_48:
	s_or_b64 exec, exec, s[34:35]
	v_add_u32_e32 v19, -1, v31
	v_and_b32_e32 v20, 64, v31
	v_cmp_lt_i32_e64 s[14:15], v19, v20
	v_cndmask_b32_e64 v19, v19, v31, s[14:15]
	v_lshlrev_b32_e32 v19, 2, v19
	ds_bpermute_b32 v35, v19, v18
	v_cmp_eq_u32_e64 s[14:15], 0, v31
	s_and_saveexec_b64 s[34:35], vcc
	s_cbranch_execz .LBB46_67
; %bb.49:
	v_mov_b32_e32 v25, 0
	ds_read_b32 v18, v25 offset:4
	s_and_saveexec_b64 s[36:37], s[14:15]
	s_cbranch_execz .LBB46_51
; %bb.50:
	s_add_i32 s38, s6, 64
	s_mov_b32 s39, 0
	s_lshl_b64 s[38:39], s[38:39], 3
	s_add_u32 s38, s30, s38
	v_mov_b32_e32 v19, 1
	s_addc_u32 s39, s31, s39
	s_waitcnt lgkmcnt(0)
	global_store_dwordx2 v25, v[18:19], s[38:39]
.LBB46_51:
	s_or_b64 exec, exec, s[36:37]
	v_xad_u32 v20, v31, -1, s6
	v_add_u32_e32 v24, 64, v20
	v_lshlrev_b64 v[22:23], 3, v[24:25]
	v_mov_b32_e32 v19, s31
	v_add_co_u32_e32 v26, vcc, s30, v22
	v_addc_co_u32_e32 v27, vcc, v19, v23, vcc
	global_load_dwordx2 v[22:23], v[26:27], off glc
	s_waitcnt vmcnt(0)
	v_cmp_eq_u16_sdwa s[38:39], v23, v25 src0_sel:BYTE_0 src1_sel:DWORD
	s_and_saveexec_b64 s[36:37], s[38:39]
	s_cbranch_execz .LBB46_55
; %bb.52:
	s_mov_b64 s[38:39], 0
	v_mov_b32_e32 v19, 0
.LBB46_53:                              ; =>This Inner Loop Header: Depth=1
	global_load_dwordx2 v[22:23], v[26:27], off glc
	s_waitcnt vmcnt(0)
	v_cmp_ne_u16_sdwa s[40:41], v23, v19 src0_sel:BYTE_0 src1_sel:DWORD
	s_or_b64 s[38:39], s[40:41], s[38:39]
	s_andn2_b64 exec, exec, s[38:39]
	s_cbranch_execnz .LBB46_53
; %bb.54:
	s_or_b64 exec, exec, s[38:39]
.LBB46_55:
	s_or_b64 exec, exec, s[36:37]
	v_and_b32_e32 v37, 63, v31
	v_mov_b32_e32 v36, 2
	v_cmp_ne_u32_e32 vcc, 63, v37
	v_cmp_eq_u16_sdwa s[36:37], v23, v36 src0_sel:BYTE_0 src1_sel:DWORD
	v_lshlrev_b64 v[24:25], v31, -1
	v_addc_co_u32_e32 v26, vcc, 0, v31, vcc
	v_and_b32_e32 v19, s37, v25
	v_lshlrev_b32_e32 v38, 2, v26
	v_or_b32_e32 v19, 0x80000000, v19
	ds_bpermute_b32 v26, v38, v22
	v_and_b32_e32 v21, s36, v24
	v_ffbl_b32_e32 v19, v19
	v_add_u32_e32 v19, 32, v19
	v_ffbl_b32_e32 v21, v21
	v_min_u32_e32 v19, v21, v19
	v_cmp_lt_u32_e32 vcc, v37, v19
	s_waitcnt lgkmcnt(0)
	v_cndmask_b32_e32 v21, 0, v26, vcc
	v_cmp_gt_u32_e32 vcc, 62, v37
	v_add_u32_e32 v21, v21, v22
	v_cndmask_b32_e64 v22, 0, 1, vcc
	v_lshlrev_b32_e32 v22, 1, v22
	v_add_lshl_u32 v39, v22, v31, 2
	ds_bpermute_b32 v22, v39, v21
	v_add_u32_e32 v40, 2, v37
	v_cmp_le_u32_e32 vcc, v40, v19
	v_add_u32_e32 v42, 4, v37
	v_add_u32_e32 v44, 8, v37
	s_waitcnt lgkmcnt(0)
	v_cndmask_b32_e32 v22, 0, v22, vcc
	v_cmp_gt_u32_e32 vcc, 60, v37
	v_add_u32_e32 v21, v21, v22
	v_cndmask_b32_e64 v22, 0, 1, vcc
	v_lshlrev_b32_e32 v22, 2, v22
	v_add_lshl_u32 v41, v22, v31, 2
	ds_bpermute_b32 v22, v41, v21
	v_cmp_le_u32_e32 vcc, v42, v19
	v_add_u32_e32 v46, 16, v37
	v_add_u32_e32 v48, 32, v37
	s_waitcnt lgkmcnt(0)
	v_cndmask_b32_e32 v22, 0, v22, vcc
	v_cmp_gt_u32_e32 vcc, 56, v37
	v_add_u32_e32 v21, v21, v22
	v_cndmask_b32_e64 v22, 0, 1, vcc
	v_lshlrev_b32_e32 v22, 3, v22
	v_add_lshl_u32 v43, v22, v31, 2
	ds_bpermute_b32 v22, v43, v21
	v_cmp_le_u32_e32 vcc, v44, v19
	s_waitcnt lgkmcnt(0)
	v_cndmask_b32_e32 v22, 0, v22, vcc
	v_cmp_gt_u32_e32 vcc, 48, v37
	v_add_u32_e32 v21, v21, v22
	v_cndmask_b32_e64 v22, 0, 1, vcc
	v_lshlrev_b32_e32 v22, 4, v22
	v_add_lshl_u32 v45, v22, v31, 2
	ds_bpermute_b32 v22, v45, v21
	v_cmp_le_u32_e32 vcc, v46, v19
	;; [unrolled: 9-line block ×3, first 2 shown]
	s_waitcnt lgkmcnt(0)
	v_cndmask_b32_e32 v19, 0, v22, vcc
	v_add_u32_e32 v22, v21, v19
	v_mov_b32_e32 v21, 0
	s_branch .LBB46_57
.LBB46_56:                              ;   in Loop: Header=BB46_57 Depth=1
	s_or_b64 exec, exec, s[36:37]
	v_cmp_eq_u16_sdwa s[36:37], v23, v36 src0_sel:BYTE_0 src1_sel:DWORD
	v_and_b32_e32 v26, s37, v25
	v_or_b32_e32 v26, 0x80000000, v26
	ds_bpermute_b32 v49, v38, v22
	v_and_b32_e32 v27, s36, v24
	v_ffbl_b32_e32 v26, v26
	v_add_u32_e32 v26, 32, v26
	v_ffbl_b32_e32 v27, v27
	v_min_u32_e32 v26, v27, v26
	v_cmp_lt_u32_e32 vcc, v37, v26
	s_waitcnt lgkmcnt(0)
	v_cndmask_b32_e32 v27, 0, v49, vcc
	v_add_u32_e32 v22, v27, v22
	ds_bpermute_b32 v27, v39, v22
	v_cmp_le_u32_e32 vcc, v40, v26
	v_subrev_u32_e32 v20, 64, v20
	s_waitcnt lgkmcnt(0)
	v_cndmask_b32_e32 v27, 0, v27, vcc
	v_add_u32_e32 v22, v22, v27
	ds_bpermute_b32 v27, v41, v22
	v_cmp_le_u32_e32 vcc, v42, v26
	s_waitcnt lgkmcnt(0)
	v_cndmask_b32_e32 v27, 0, v27, vcc
	v_add_u32_e32 v22, v22, v27
	ds_bpermute_b32 v27, v43, v22
	v_cmp_le_u32_e32 vcc, v44, v26
	;; [unrolled: 5-line block ×4, first 2 shown]
	s_waitcnt lgkmcnt(0)
	v_cndmask_b32_e32 v26, 0, v27, vcc
	v_add3_u32 v22, v26, v19, v22
.LBB46_57:                              ; =>This Loop Header: Depth=1
                                        ;     Child Loop BB46_60 Depth 2
	v_cmp_ne_u16_sdwa s[36:37], v23, v36 src0_sel:BYTE_0 src1_sel:DWORD
	v_cndmask_b32_e64 v19, 0, 1, s[36:37]
	;;#ASMSTART
	;;#ASMEND
	v_cmp_ne_u32_e32 vcc, 0, v19
	s_cmp_lg_u64 vcc, exec
	v_mov_b32_e32 v19, v22
	s_cbranch_scc1 .LBB46_62
; %bb.58:                               ;   in Loop: Header=BB46_57 Depth=1
	v_lshlrev_b64 v[22:23], 3, v[20:21]
	v_mov_b32_e32 v27, s31
	v_add_co_u32_e32 v26, vcc, s30, v22
	v_addc_co_u32_e32 v27, vcc, v27, v23, vcc
	global_load_dwordx2 v[22:23], v[26:27], off glc
	s_waitcnt vmcnt(0)
	v_cmp_eq_u16_sdwa s[38:39], v23, v21 src0_sel:BYTE_0 src1_sel:DWORD
	s_and_saveexec_b64 s[36:37], s[38:39]
	s_cbranch_execz .LBB46_56
; %bb.59:                               ;   in Loop: Header=BB46_57 Depth=1
	s_mov_b64 s[38:39], 0
.LBB46_60:                              ;   Parent Loop BB46_57 Depth=1
                                        ; =>  This Inner Loop Header: Depth=2
	global_load_dwordx2 v[22:23], v[26:27], off glc
	s_waitcnt vmcnt(0)
	v_cmp_ne_u16_sdwa s[40:41], v23, v21 src0_sel:BYTE_0 src1_sel:DWORD
	s_or_b64 s[38:39], s[40:41], s[38:39]
	s_andn2_b64 exec, exec, s[38:39]
	s_cbranch_execnz .LBB46_60
; %bb.61:                               ;   in Loop: Header=BB46_57 Depth=1
	s_or_b64 exec, exec, s[38:39]
	s_branch .LBB46_56
.LBB46_62:                              ;   in Loop: Header=BB46_57 Depth=1
                                        ; implicit-def: $vgpr22
                                        ; implicit-def: $vgpr23
	s_cbranch_execz .LBB46_57
; %bb.63:
	s_and_saveexec_b64 s[36:37], s[14:15]
	s_cbranch_execz .LBB46_65
; %bb.64:
	s_add_i32 s6, s6, 64
	s_mov_b32 s7, 0
	s_lshl_b64 s[6:7], s[6:7], 3
	s_add_u32 s6, s30, s6
	v_add_u32_e32 v20, v19, v18
	v_mov_b32_e32 v21, 2
	s_addc_u32 s7, s31, s7
	v_mov_b32_e32 v22, 0
	global_store_dwordx2 v22, v[20:21], s[6:7]
	ds_write_b64 v22, v[18:19] offset:4224
.LBB46_65:
	s_or_b64 exec, exec, s[36:37]
	v_cmp_eq_u32_e32 vcc, 0, v0
	s_and_b64 exec, exec, vcc
	s_cbranch_execz .LBB46_67
; %bb.66:
	v_mov_b32_e32 v18, 0
	ds_write_b32 v18, v19 offset:4
.LBB46_67:
	s_or_b64 exec, exec, s[34:35]
	v_mov_b32_e32 v19, 0
	s_waitcnt lgkmcnt(0)
	s_barrier
	ds_read_b32 v20, v19 offset:4
	v_cndmask_b32_e64 v18, v35, v34, s[14:15]
	v_cmp_ne_u32_e32 vcc, 0, v0
	s_waitcnt lgkmcnt(0)
	s_barrier
	ds_read_b64 v[26:27], v19 offset:4224
	v_cndmask_b32_e32 v18, 0, v18, vcc
	v_add_u32_e32 v24, v20, v18
	v_add_u32_sdwa v22, v24, v1 dst_sel:DWORD dst_unused:UNUSED_PAD src0_sel:DWORD src1_sel:BYTE_0
	v_add_u32_sdwa v20, v22, v1 dst_sel:DWORD dst_unused:UNUSED_PAD src0_sel:DWORD src1_sel:BYTE_1
	v_add_u32_e32 v18, v20, v30
	s_waitcnt lgkmcnt(0)
	v_readfirstlane_b32 s33, v26
	v_readfirstlane_b32 s6, v27
	s_branch .LBB46_78
.LBB46_68:
                                        ; implicit-def: $sgpr6
                                        ; implicit-def: $sgpr33
                                        ; implicit-def: $vgpr18
                                        ; implicit-def: $vgpr20
                                        ; implicit-def: $vgpr22
                                        ; implicit-def: $vgpr24
	s_cbranch_execz .LBB46_78
; %bb.69:
	s_nop 0
	v_mov_b32_dpp v18, v33 row_shr:1 row_mask:0xf bank_mask:0xf
	v_cndmask_b32_e64 v18, v18, 0, s[12:13]
	v_add_u32_e32 v18, v18, v33
	s_nop 1
	v_mov_b32_dpp v19, v18 row_shr:2 row_mask:0xf bank_mask:0xf
	v_cndmask_b32_e64 v19, 0, v19, s[10:11]
	v_add_u32_e32 v18, v18, v19
	s_nop 1
	v_mov_b32_dpp v19, v18 row_shr:4 row_mask:0xf bank_mask:0xf
	v_cndmask_b32_e64 v19, 0, v19, s[8:9]
	v_add_u32_e32 v18, v18, v19
	s_nop 1
	v_mov_b32_dpp v19, v18 row_shr:8 row_mask:0xf bank_mask:0xf
	v_cndmask_b32_e64 v19, 0, v19, s[16:17]
	v_add_u32_e32 v18, v18, v19
	s_nop 1
	v_mov_b32_dpp v19, v18 row_bcast:15 row_mask:0xf bank_mask:0xf
	v_cndmask_b32_e64 v19, v19, 0, s[4:5]
	v_add_u32_e32 v18, v18, v19
	s_nop 1
	v_mov_b32_dpp v19, v18 row_bcast:31 row_mask:0xf bank_mask:0xf
	v_cndmask_b32_e64 v19, 0, v19, s[0:1]
	v_add_u32_e32 v18, v18, v19
	s_and_saveexec_b64 s[0:1], s[2:3]
	s_cbranch_execz .LBB46_71
; %bb.70:
	v_lshlrev_b32_e32 v19, 2, v32
	ds_write_b32 v19, v18
.LBB46_71:
	s_or_b64 exec, exec, s[0:1]
	v_cmp_gt_u32_e32 vcc, 2, v0
	s_waitcnt lgkmcnt(0)
	s_barrier
	s_and_saveexec_b64 s[0:1], vcc
	s_cbranch_execz .LBB46_73
; %bb.72:
	ds_read_b32 v19, v29
	v_bfe_i32 v20, v31, 0, 1
	s_waitcnt lgkmcnt(0)
	v_mov_b32_dpp v21, v19 row_shr:1 row_mask:0xf bank_mask:0xf
	v_and_b32_e32 v20, v20, v21
	v_add_u32_e32 v19, v20, v19
	ds_write_b32 v29, v19
.LBB46_73:
	s_or_b64 exec, exec, s[0:1]
	v_cmp_lt_u32_e32 vcc, 63, v0
	v_mov_b32_e32 v20, 0
	v_mov_b32_e32 v19, 0
	s_waitcnt lgkmcnt(0)
	s_barrier
	s_and_saveexec_b64 s[0:1], vcc
	s_cbranch_execz .LBB46_75
; %bb.74:
	v_lshl_add_u32 v19, v32, 2, -4
	ds_read_b32 v19, v19
.LBB46_75:
	s_or_b64 exec, exec, s[0:1]
	v_add_u32_e32 v21, -1, v31
	v_and_b32_e32 v22, 64, v31
	v_cmp_lt_i32_e32 vcc, v21, v22
	v_cndmask_b32_e32 v21, v21, v31, vcc
	s_waitcnt lgkmcnt(0)
	v_add_u32_e32 v18, v19, v18
	v_lshlrev_b32_e32 v21, 2, v21
	ds_read_b32 v20, v20 offset:4
	ds_bpermute_b32 v18, v21, v18
	s_mov_b32 s6, 0
	v_cmp_eq_u32_e32 vcc, 0, v0
	s_waitcnt lgkmcnt(1)
	v_readfirstlane_b32 s33, v20
	s_and_saveexec_b64 s[0:1], vcc
	s_cbranch_execz .LBB46_77
; %bb.76:
	v_mov_b32_e32 v22, 0
	v_mov_b32_e32 v20, s33
	v_mov_b32_e32 v21, 2
	global_store_dwordx2 v22, v[20:21], s[30:31] offset:512
.LBB46_77:
	s_or_b64 exec, exec, s[0:1]
	v_cmp_eq_u32_e64 s[0:1], 0, v31
	s_waitcnt lgkmcnt(0)
	v_cndmask_b32_e64 v18, v18, v19, s[0:1]
	v_cndmask_b32_e64 v24, v18, 0, vcc
	v_add_u32_sdwa v22, v24, v1 dst_sel:DWORD dst_unused:UNUSED_PAD src0_sel:DWORD src1_sel:BYTE_0
	v_add_u32_sdwa v20, v22, v1 dst_sel:DWORD dst_unused:UNUSED_PAD src0_sel:DWORD src1_sel:BYTE_1
	v_add_u32_e32 v18, v20, v30
	s_barrier
.LBB46_78:
	s_cmpk_lt_u32 s33, 0x81
	s_cselect_b64 s[2:3], -1, 0
	v_lshrrev_b32_e32 v26, 8, v1
	s_mov_b64 s[0:1], -1
	s_and_b64 vcc, exec, s[2:3]
	s_cbranch_vccz .LBB46_92
; %bb.79:
	s_add_i32 s4, s6, s33
	v_cmp_gt_u32_e32 vcc, s4, v24
	s_or_b64 s[8:9], s[28:29], vcc
	s_and_saveexec_b64 s[0:1], s[8:9]
	s_cbranch_execz .LBB46_82
; %bb.80:
	v_and_b32_e32 v19, 1, v1
	v_cmp_eq_u32_e32 vcc, 1, v19
	s_and_b64 exec, exec, vcc
	s_cbranch_execz .LBB46_82
; %bb.81:
	s_lshl_b64 s[8:9], s[18:19], 3
	s_add_u32 s5, s24, s8
	v_mov_b32_e32 v25, 0
	s_addc_u32 s7, s25, s9
	v_lshlrev_b64 v[30:31], 3, v[24:25]
	v_mov_b32_e32 v19, s7
	v_add_co_u32_e32 v30, vcc, s5, v30
	v_addc_co_u32_e32 v31, vcc, v19, v31, vcc
	global_store_dwordx2 v[30:31], v[14:15], off
.LBB46_82:
	s_or_b64 exec, exec, s[0:1]
	v_cmp_gt_u32_e32 vcc, s4, v22
	s_or_b64 s[8:9], s[28:29], vcc
	s_and_saveexec_b64 s[0:1], s[8:9]
	s_cbranch_execz .LBB46_85
; %bb.83:
	v_and_b32_e32 v19, 1, v26
	v_cmp_eq_u32_e32 vcc, 1, v19
	s_and_b64 exec, exec, vcc
	s_cbranch_execz .LBB46_85
; %bb.84:
	s_lshl_b64 s[8:9], s[18:19], 3
	s_add_u32 s5, s24, s8
	v_mov_b32_e32 v23, 0
	s_addc_u32 s7, s25, s9
	v_lshlrev_b64 v[30:31], 3, v[22:23]
	v_mov_b32_e32 v19, s7
	v_add_co_u32_e32 v30, vcc, s5, v30
	v_addc_co_u32_e32 v31, vcc, v19, v31, vcc
	global_store_dwordx2 v[30:31], v[16:17], off
.LBB46_85:
	s_or_b64 exec, exec, s[0:1]
	v_cmp_gt_u32_e32 vcc, s4, v20
	s_or_b64 s[8:9], s[28:29], vcc
	s_and_saveexec_b64 s[0:1], s[8:9]
	s_cbranch_execz .LBB46_88
; %bb.86:
	v_mov_b32_e32 v19, 1
	v_and_b32_sdwa v19, v19, v1 dst_sel:DWORD dst_unused:UNUSED_PAD src0_sel:DWORD src1_sel:WORD_1
	v_cmp_eq_u32_e32 vcc, 1, v19
	s_and_b64 exec, exec, vcc
	s_cbranch_execz .LBB46_88
; %bb.87:
	s_lshl_b64 s[8:9], s[18:19], 3
	s_add_u32 s5, s24, s8
	v_mov_b32_e32 v21, 0
	s_addc_u32 s7, s25, s9
	v_lshlrev_b64 v[30:31], 3, v[20:21]
	v_mov_b32_e32 v19, s7
	v_add_co_u32_e32 v30, vcc, s5, v30
	v_addc_co_u32_e32 v31, vcc, v19, v31, vcc
	global_store_dwordx2 v[30:31], v[10:11], off
.LBB46_88:
	s_or_b64 exec, exec, s[0:1]
	v_cmp_gt_u32_e32 vcc, s4, v18
	s_or_b64 s[4:5], s[28:29], vcc
	s_and_saveexec_b64 s[0:1], s[4:5]
	s_cbranch_execz .LBB46_91
; %bb.89:
	v_and_b32_e32 v19, 1, v28
	v_cmp_eq_u32_e32 vcc, 1, v19
	s_and_b64 exec, exec, vcc
	s_cbranch_execz .LBB46_91
; %bb.90:
	s_lshl_b64 s[4:5], s[18:19], 3
	s_add_u32 s4, s24, s4
	v_mov_b32_e32 v19, 0
	s_addc_u32 s5, s25, s5
	v_lshlrev_b64 v[30:31], 3, v[18:19]
	v_mov_b32_e32 v19, s5
	v_add_co_u32_e32 v30, vcc, s4, v30
	v_addc_co_u32_e32 v31, vcc, v19, v31, vcc
	global_store_dwordx2 v[30:31], v[12:13], off
.LBB46_91:
	s_or_b64 exec, exec, s[0:1]
	s_mov_b64 s[0:1], 0
.LBB46_92:
	v_and_b32_e32 v27, 1, v1
	s_and_b64 vcc, exec, s[0:1]
	v_cmp_eq_u32_e64 s[0:1], 1, v27
	s_cbranch_vccz .LBB46_105
; %bb.93:
	s_and_saveexec_b64 s[4:5], s[0:1]
	s_cbranch_execz .LBB46_95
; %bb.94:
	v_subrev_u32_e32 v19, s6, v24
	v_lshlrev_b32_e32 v19, 3, v19
	ds_write_b64 v19, v[14:15]
.LBB46_95:
	s_or_b64 exec, exec, s[4:5]
	v_and_b32_e32 v14, 1, v26
	v_cmp_eq_u32_e32 vcc, 1, v14
	s_and_saveexec_b64 s[0:1], vcc
	s_cbranch_execz .LBB46_97
; %bb.96:
	v_subrev_u32_e32 v14, s6, v22
	v_lshlrev_b32_e32 v14, 3, v14
	ds_write_b64 v14, v[16:17]
.LBB46_97:
	s_or_b64 exec, exec, s[0:1]
	v_mov_b32_e32 v14, 1
	v_and_b32_sdwa v14, v14, v1 dst_sel:DWORD dst_unused:UNUSED_PAD src0_sel:DWORD src1_sel:WORD_1
	v_cmp_eq_u32_e32 vcc, 1, v14
	s_and_saveexec_b64 s[0:1], vcc
	s_cbranch_execz .LBB46_99
; %bb.98:
	v_subrev_u32_e32 v14, s6, v20
	v_lshlrev_b32_e32 v14, 3, v14
	ds_write_b64 v14, v[10:11]
.LBB46_99:
	s_or_b64 exec, exec, s[0:1]
	v_and_b32_e32 v10, 1, v28
	v_cmp_eq_u32_e32 vcc, 1, v10
	s_and_saveexec_b64 s[0:1], vcc
	s_cbranch_execz .LBB46_101
; %bb.100:
	v_subrev_u32_e32 v10, s6, v18
	v_lshlrev_b32_e32 v10, 3, v10
	ds_write_b64 v10, v[12:13]
.LBB46_101:
	s_or_b64 exec, exec, s[0:1]
	v_cmp_gt_u32_e32 vcc, s33, v0
	s_waitcnt lgkmcnt(0)
	s_barrier
	s_and_saveexec_b64 s[0:1], vcc
	s_cbranch_execz .LBB46_104
; %bb.102:
	s_mov_b32 s7, 0
	s_lshl_b64 s[4:5], s[6:7], 3
	s_add_u32 s7, s24, s4
	s_addc_u32 s8, s25, s5
	s_lshl_b64 s[4:5], s[18:19], 3
	s_add_u32 s7, s7, s4
	s_addc_u32 s8, s8, s5
	v_lshlrev_b32_e32 v12, 3, v0
	s_mov_b64 s[4:5], 0
	v_mov_b32_e32 v11, 0
	v_mov_b32_e32 v13, s8
	;; [unrolled: 1-line block ×3, first 2 shown]
.LBB46_103:                             ; =>This Inner Loop Header: Depth=1
	ds_read_b64 v[14:15], v12
	v_lshlrev_b64 v[16:17], 3, v[10:11]
	v_add_co_u32_e32 v16, vcc, s7, v16
	v_add_u32_e32 v10, 0x80, v10
	v_addc_co_u32_e32 v17, vcc, v13, v17, vcc
	v_cmp_le_u32_e32 vcc, s33, v10
	v_add_u32_e32 v12, 0x400, v12
	s_or_b64 s[4:5], vcc, s[4:5]
	s_waitcnt lgkmcnt(0)
	global_store_dwordx2 v[16:17], v[14:15], off
	s_andn2_b64 exec, exec, s[4:5]
	s_cbranch_execnz .LBB46_103
.LBB46_104:
	s_or_b64 exec, exec, s[0:1]
.LBB46_105:
	s_mov_b64 s[0:1], -1
	s_and_b64 vcc, exec, s[2:3]
	s_barrier
	s_cbranch_vccnz .LBB46_109
; %bb.106:
	s_and_b64 vcc, exec, s[0:1]
	s_cbranch_vccnz .LBB46_122
.LBB46_107:
	v_cmp_eq_u32_e32 vcc, 0, v0
	s_and_b64 s[0:1], vcc, s[22:23]
	s_and_saveexec_b64 s[2:3], s[0:1]
	s_cbranch_execnz .LBB46_134
.LBB46_108:
	s_endpgm
.LBB46_109:
	s_add_i32 s2, s6, s33
	v_cmp_gt_u32_e32 vcc, s2, v24
	s_or_b64 s[4:5], s[28:29], vcc
	s_and_saveexec_b64 s[0:1], s[4:5]
	s_cbranch_execz .LBB46_112
; %bb.110:
	v_cmp_eq_u32_e32 vcc, 1, v27
	s_and_b64 exec, exec, vcc
	s_cbranch_execz .LBB46_112
; %bb.111:
	s_lshl_b64 s[4:5], s[18:19], 3
	s_add_u32 s3, s26, s4
	v_mov_b32_e32 v25, 0
	s_addc_u32 s4, s27, s5
	v_lshlrev_b64 v[10:11], 3, v[24:25]
	v_mov_b32_e32 v12, s4
	v_add_co_u32_e32 v10, vcc, s3, v10
	v_addc_co_u32_e32 v11, vcc, v12, v11, vcc
	global_store_dwordx2 v[10:11], v[6:7], off
.LBB46_112:
	s_or_b64 exec, exec, s[0:1]
	v_cmp_gt_u32_e32 vcc, s2, v22
	s_or_b64 s[4:5], s[28:29], vcc
	s_and_saveexec_b64 s[0:1], s[4:5]
	s_cbranch_execz .LBB46_115
; %bb.113:
	v_and_b32_e32 v10, 1, v26
	v_cmp_eq_u32_e32 vcc, 1, v10
	s_and_b64 exec, exec, vcc
	s_cbranch_execz .LBB46_115
; %bb.114:
	s_lshl_b64 s[4:5], s[18:19], 3
	s_add_u32 s3, s26, s4
	v_mov_b32_e32 v23, 0
	s_addc_u32 s4, s27, s5
	v_lshlrev_b64 v[10:11], 3, v[22:23]
	v_mov_b32_e32 v12, s4
	v_add_co_u32_e32 v10, vcc, s3, v10
	v_addc_co_u32_e32 v11, vcc, v12, v11, vcc
	global_store_dwordx2 v[10:11], v[8:9], off
.LBB46_115:
	s_or_b64 exec, exec, s[0:1]
	v_cmp_gt_u32_e32 vcc, s2, v20
	s_or_b64 s[4:5], s[28:29], vcc
	s_and_saveexec_b64 s[0:1], s[4:5]
	s_cbranch_execz .LBB46_118
; %bb.116:
	v_mov_b32_e32 v10, 1
	v_and_b32_sdwa v10, v10, v1 dst_sel:DWORD dst_unused:UNUSED_PAD src0_sel:DWORD src1_sel:WORD_1
	v_cmp_eq_u32_e32 vcc, 1, v10
	s_and_b64 exec, exec, vcc
	s_cbranch_execz .LBB46_118
; %bb.117:
	s_lshl_b64 s[4:5], s[18:19], 3
	s_add_u32 s3, s26, s4
	v_mov_b32_e32 v21, 0
	s_addc_u32 s4, s27, s5
	v_lshlrev_b64 v[10:11], 3, v[20:21]
	v_mov_b32_e32 v12, s4
	v_add_co_u32_e32 v10, vcc, s3, v10
	v_addc_co_u32_e32 v11, vcc, v12, v11, vcc
	global_store_dwordx2 v[10:11], v[2:3], off
.LBB46_118:
	s_or_b64 exec, exec, s[0:1]
	v_cmp_gt_u32_e32 vcc, s2, v18
	s_or_b64 s[2:3], s[28:29], vcc
	s_and_saveexec_b64 s[0:1], s[2:3]
	s_cbranch_execz .LBB46_121
; %bb.119:
	v_and_b32_e32 v10, 1, v28
	v_cmp_eq_u32_e32 vcc, 1, v10
	s_and_b64 exec, exec, vcc
	s_cbranch_execz .LBB46_121
; %bb.120:
	s_lshl_b64 s[2:3], s[18:19], 3
	s_add_u32 s2, s26, s2
	v_mov_b32_e32 v19, 0
	s_addc_u32 s3, s27, s3
	v_lshlrev_b64 v[10:11], 3, v[18:19]
	v_mov_b32_e32 v12, s3
	v_add_co_u32_e32 v10, vcc, s2, v10
	v_addc_co_u32_e32 v11, vcc, v12, v11, vcc
	global_store_dwordx2 v[10:11], v[4:5], off
.LBB46_121:
	s_or_b64 exec, exec, s[0:1]
	s_branch .LBB46_107
.LBB46_122:
	v_cmp_eq_u32_e32 vcc, 1, v27
	s_and_saveexec_b64 s[0:1], vcc
	s_cbranch_execz .LBB46_124
; %bb.123:
	v_subrev_u32_e32 v10, s6, v24
	v_lshlrev_b32_e32 v10, 3, v10
	ds_write_b64 v10, v[6:7]
.LBB46_124:
	s_or_b64 exec, exec, s[0:1]
	v_and_b32_e32 v6, 1, v26
	v_cmp_eq_u32_e32 vcc, 1, v6
	s_and_saveexec_b64 s[0:1], vcc
	s_cbranch_execz .LBB46_126
; %bb.125:
	v_subrev_u32_e32 v6, s6, v22
	v_lshlrev_b32_e32 v6, 3, v6
	ds_write_b64 v6, v[8:9]
.LBB46_126:
	s_or_b64 exec, exec, s[0:1]
	v_mov_b32_e32 v6, 1
	v_and_b32_sdwa v1, v6, v1 dst_sel:DWORD dst_unused:UNUSED_PAD src0_sel:DWORD src1_sel:WORD_1
	v_cmp_eq_u32_e32 vcc, 1, v1
	s_and_saveexec_b64 s[0:1], vcc
	s_cbranch_execz .LBB46_128
; %bb.127:
	v_subrev_u32_e32 v1, s6, v20
	v_lshlrev_b32_e32 v1, 3, v1
	ds_write_b64 v1, v[2:3]
.LBB46_128:
	s_or_b64 exec, exec, s[0:1]
	v_and_b32_e32 v1, 1, v28
	v_cmp_eq_u32_e32 vcc, 1, v1
	s_and_saveexec_b64 s[0:1], vcc
	s_cbranch_execz .LBB46_130
; %bb.129:
	v_subrev_u32_e32 v1, s6, v18
	v_lshlrev_b32_e32 v1, 3, v1
	ds_write_b64 v1, v[4:5]
.LBB46_130:
	s_or_b64 exec, exec, s[0:1]
	v_cmp_gt_u32_e32 vcc, s33, v0
	s_waitcnt lgkmcnt(0)
	s_barrier
	s_and_saveexec_b64 s[0:1], vcc
	s_cbranch_execz .LBB46_133
; %bb.131:
	s_mov_b32 s7, 0
	s_lshl_b64 s[2:3], s[6:7], 3
	s_add_u32 s4, s26, s2
	s_addc_u32 s5, s27, s3
	s_lshl_b64 s[2:3], s[18:19], 3
	s_add_u32 s4, s4, s2
	s_addc_u32 s5, s5, s3
	v_lshlrev_b32_e32 v1, 3, v0
	s_mov_b64 s[2:3], 0
	v_mov_b32_e32 v3, 0
	v_mov_b32_e32 v4, s5
	;; [unrolled: 1-line block ×3, first 2 shown]
.LBB46_132:                             ; =>This Inner Loop Header: Depth=1
	ds_read_b64 v[6:7], v1
	v_lshlrev_b64 v[8:9], 3, v[2:3]
	v_add_co_u32_e32 v8, vcc, s4, v8
	v_add_u32_e32 v2, 0x80, v2
	v_addc_co_u32_e32 v9, vcc, v4, v9, vcc
	v_cmp_le_u32_e32 vcc, s33, v2
	v_add_u32_e32 v1, 0x400, v1
	s_or_b64 s[2:3], vcc, s[2:3]
	s_waitcnt lgkmcnt(0)
	global_store_dwordx2 v[8:9], v[6:7], off
	s_andn2_b64 exec, exec, s[2:3]
	s_cbranch_execnz .LBB46_132
.LBB46_133:
	s_or_b64 exec, exec, s[0:1]
	v_cmp_eq_u32_e32 vcc, 0, v0
	s_and_b64 s[0:1], vcc, s[22:23]
	s_and_saveexec_b64 s[2:3], s[0:1]
	s_cbranch_execz .LBB46_108
.LBB46_134:
	s_add_u32 s0, s18, s33
	s_addc_u32 s1, s19, 0
	s_add_u32 s0, s0, s6
	s_addc_u32 s1, s1, 0
	v_mov_b32_e32 v2, 0
	v_pk_mov_b32 v[0:1], s[0:1], s[0:1] op_sel:[0,1]
	global_store_dwordx2 v2, v[0:1], s[20:21]
	s_endpgm
	.section	.rodata,"a",@progbits
	.p2align	6, 0x0
	.amdhsa_kernel _ZN7rocprim17ROCPRIM_400000_NS6detail17trampoline_kernelINS0_14default_configENS1_25partition_config_selectorILNS1_17partition_subalgoE9EllbEEZZNS1_14partition_implILS5_9ELb0ES3_jPKlN6thrust23THRUST_200600_302600_NS17counting_iteratorIlNSB_11use_defaultESD_SD_EEPNS0_10empty_typeENS0_5tupleIJPlSF_EEENSH_IJSI_SG_EEENS0_18inequality_wrapperIN6hipcub16HIPCUB_304000_NS8EqualityEEESI_JSF_EEE10hipError_tPvRmT3_T4_T5_T6_T7_T9_mT8_P12ihipStream_tbDpT10_ENKUlT_T0_E_clISt17integral_constantIbLb0EES19_EEDaS14_S15_EUlS14_E_NS1_11comp_targetILNS1_3genE4ELNS1_11target_archE910ELNS1_3gpuE8ELNS1_3repE0EEENS1_30default_config_static_selectorELNS0_4arch9wavefront6targetE1EEEvT1_
		.amdhsa_group_segment_fixed_size 4232
		.amdhsa_private_segment_fixed_size 0
		.amdhsa_kernarg_size 112
		.amdhsa_user_sgpr_count 6
		.amdhsa_user_sgpr_private_segment_buffer 1
		.amdhsa_user_sgpr_dispatch_ptr 0
		.amdhsa_user_sgpr_queue_ptr 0
		.amdhsa_user_sgpr_kernarg_segment_ptr 1
		.amdhsa_user_sgpr_dispatch_id 0
		.amdhsa_user_sgpr_flat_scratch_init 0
		.amdhsa_user_sgpr_kernarg_preload_length 0
		.amdhsa_user_sgpr_kernarg_preload_offset 0
		.amdhsa_user_sgpr_private_segment_size 0
		.amdhsa_uses_dynamic_stack 0
		.amdhsa_system_sgpr_private_segment_wavefront_offset 0
		.amdhsa_system_sgpr_workgroup_id_x 1
		.amdhsa_system_sgpr_workgroup_id_y 0
		.amdhsa_system_sgpr_workgroup_id_z 0
		.amdhsa_system_sgpr_workgroup_info 0
		.amdhsa_system_vgpr_workitem_id 0
		.amdhsa_next_free_vgpr 50
		.amdhsa_next_free_sgpr 42
		.amdhsa_accum_offset 52
		.amdhsa_reserve_vcc 1
		.amdhsa_reserve_flat_scratch 0
		.amdhsa_float_round_mode_32 0
		.amdhsa_float_round_mode_16_64 0
		.amdhsa_float_denorm_mode_32 3
		.amdhsa_float_denorm_mode_16_64 3
		.amdhsa_dx10_clamp 1
		.amdhsa_ieee_mode 1
		.amdhsa_fp16_overflow 0
		.amdhsa_tg_split 0
		.amdhsa_exception_fp_ieee_invalid_op 0
		.amdhsa_exception_fp_denorm_src 0
		.amdhsa_exception_fp_ieee_div_zero 0
		.amdhsa_exception_fp_ieee_overflow 0
		.amdhsa_exception_fp_ieee_underflow 0
		.amdhsa_exception_fp_ieee_inexact 0
		.amdhsa_exception_int_div_zero 0
	.end_amdhsa_kernel
	.section	.text._ZN7rocprim17ROCPRIM_400000_NS6detail17trampoline_kernelINS0_14default_configENS1_25partition_config_selectorILNS1_17partition_subalgoE9EllbEEZZNS1_14partition_implILS5_9ELb0ES3_jPKlN6thrust23THRUST_200600_302600_NS17counting_iteratorIlNSB_11use_defaultESD_SD_EEPNS0_10empty_typeENS0_5tupleIJPlSF_EEENSH_IJSI_SG_EEENS0_18inequality_wrapperIN6hipcub16HIPCUB_304000_NS8EqualityEEESI_JSF_EEE10hipError_tPvRmT3_T4_T5_T6_T7_T9_mT8_P12ihipStream_tbDpT10_ENKUlT_T0_E_clISt17integral_constantIbLb0EES19_EEDaS14_S15_EUlS14_E_NS1_11comp_targetILNS1_3genE4ELNS1_11target_archE910ELNS1_3gpuE8ELNS1_3repE0EEENS1_30default_config_static_selectorELNS0_4arch9wavefront6targetE1EEEvT1_,"axG",@progbits,_ZN7rocprim17ROCPRIM_400000_NS6detail17trampoline_kernelINS0_14default_configENS1_25partition_config_selectorILNS1_17partition_subalgoE9EllbEEZZNS1_14partition_implILS5_9ELb0ES3_jPKlN6thrust23THRUST_200600_302600_NS17counting_iteratorIlNSB_11use_defaultESD_SD_EEPNS0_10empty_typeENS0_5tupleIJPlSF_EEENSH_IJSI_SG_EEENS0_18inequality_wrapperIN6hipcub16HIPCUB_304000_NS8EqualityEEESI_JSF_EEE10hipError_tPvRmT3_T4_T5_T6_T7_T9_mT8_P12ihipStream_tbDpT10_ENKUlT_T0_E_clISt17integral_constantIbLb0EES19_EEDaS14_S15_EUlS14_E_NS1_11comp_targetILNS1_3genE4ELNS1_11target_archE910ELNS1_3gpuE8ELNS1_3repE0EEENS1_30default_config_static_selectorELNS0_4arch9wavefront6targetE1EEEvT1_,comdat
.Lfunc_end46:
	.size	_ZN7rocprim17ROCPRIM_400000_NS6detail17trampoline_kernelINS0_14default_configENS1_25partition_config_selectorILNS1_17partition_subalgoE9EllbEEZZNS1_14partition_implILS5_9ELb0ES3_jPKlN6thrust23THRUST_200600_302600_NS17counting_iteratorIlNSB_11use_defaultESD_SD_EEPNS0_10empty_typeENS0_5tupleIJPlSF_EEENSH_IJSI_SG_EEENS0_18inequality_wrapperIN6hipcub16HIPCUB_304000_NS8EqualityEEESI_JSF_EEE10hipError_tPvRmT3_T4_T5_T6_T7_T9_mT8_P12ihipStream_tbDpT10_ENKUlT_T0_E_clISt17integral_constantIbLb0EES19_EEDaS14_S15_EUlS14_E_NS1_11comp_targetILNS1_3genE4ELNS1_11target_archE910ELNS1_3gpuE8ELNS1_3repE0EEENS1_30default_config_static_selectorELNS0_4arch9wavefront6targetE1EEEvT1_, .Lfunc_end46-_ZN7rocprim17ROCPRIM_400000_NS6detail17trampoline_kernelINS0_14default_configENS1_25partition_config_selectorILNS1_17partition_subalgoE9EllbEEZZNS1_14partition_implILS5_9ELb0ES3_jPKlN6thrust23THRUST_200600_302600_NS17counting_iteratorIlNSB_11use_defaultESD_SD_EEPNS0_10empty_typeENS0_5tupleIJPlSF_EEENSH_IJSI_SG_EEENS0_18inequality_wrapperIN6hipcub16HIPCUB_304000_NS8EqualityEEESI_JSF_EEE10hipError_tPvRmT3_T4_T5_T6_T7_T9_mT8_P12ihipStream_tbDpT10_ENKUlT_T0_E_clISt17integral_constantIbLb0EES19_EEDaS14_S15_EUlS14_E_NS1_11comp_targetILNS1_3genE4ELNS1_11target_archE910ELNS1_3gpuE8ELNS1_3repE0EEENS1_30default_config_static_selectorELNS0_4arch9wavefront6targetE1EEEvT1_
                                        ; -- End function
	.section	.AMDGPU.csdata,"",@progbits
; Kernel info:
; codeLenInByte = 5224
; NumSgprs: 46
; NumVgprs: 50
; NumAgprs: 0
; TotalNumVgprs: 50
; ScratchSize: 0
; MemoryBound: 0
; FloatMode: 240
; IeeeMode: 1
; LDSByteSize: 4232 bytes/workgroup (compile time only)
; SGPRBlocks: 5
; VGPRBlocks: 6
; NumSGPRsForWavesPerEU: 46
; NumVGPRsForWavesPerEU: 50
; AccumOffset: 52
; Occupancy: 8
; WaveLimiterHint : 1
; COMPUTE_PGM_RSRC2:SCRATCH_EN: 0
; COMPUTE_PGM_RSRC2:USER_SGPR: 6
; COMPUTE_PGM_RSRC2:TRAP_HANDLER: 0
; COMPUTE_PGM_RSRC2:TGID_X_EN: 1
; COMPUTE_PGM_RSRC2:TGID_Y_EN: 0
; COMPUTE_PGM_RSRC2:TGID_Z_EN: 0
; COMPUTE_PGM_RSRC2:TIDIG_COMP_CNT: 0
; COMPUTE_PGM_RSRC3_GFX90A:ACCUM_OFFSET: 12
; COMPUTE_PGM_RSRC3_GFX90A:TG_SPLIT: 0
	.section	.text._ZN7rocprim17ROCPRIM_400000_NS6detail17trampoline_kernelINS0_14default_configENS1_25partition_config_selectorILNS1_17partition_subalgoE9EllbEEZZNS1_14partition_implILS5_9ELb0ES3_jPKlN6thrust23THRUST_200600_302600_NS17counting_iteratorIlNSB_11use_defaultESD_SD_EEPNS0_10empty_typeENS0_5tupleIJPlSF_EEENSH_IJSI_SG_EEENS0_18inequality_wrapperIN6hipcub16HIPCUB_304000_NS8EqualityEEESI_JSF_EEE10hipError_tPvRmT3_T4_T5_T6_T7_T9_mT8_P12ihipStream_tbDpT10_ENKUlT_T0_E_clISt17integral_constantIbLb0EES19_EEDaS14_S15_EUlS14_E_NS1_11comp_targetILNS1_3genE3ELNS1_11target_archE908ELNS1_3gpuE7ELNS1_3repE0EEENS1_30default_config_static_selectorELNS0_4arch9wavefront6targetE1EEEvT1_,"axG",@progbits,_ZN7rocprim17ROCPRIM_400000_NS6detail17trampoline_kernelINS0_14default_configENS1_25partition_config_selectorILNS1_17partition_subalgoE9EllbEEZZNS1_14partition_implILS5_9ELb0ES3_jPKlN6thrust23THRUST_200600_302600_NS17counting_iteratorIlNSB_11use_defaultESD_SD_EEPNS0_10empty_typeENS0_5tupleIJPlSF_EEENSH_IJSI_SG_EEENS0_18inequality_wrapperIN6hipcub16HIPCUB_304000_NS8EqualityEEESI_JSF_EEE10hipError_tPvRmT3_T4_T5_T6_T7_T9_mT8_P12ihipStream_tbDpT10_ENKUlT_T0_E_clISt17integral_constantIbLb0EES19_EEDaS14_S15_EUlS14_E_NS1_11comp_targetILNS1_3genE3ELNS1_11target_archE908ELNS1_3gpuE7ELNS1_3repE0EEENS1_30default_config_static_selectorELNS0_4arch9wavefront6targetE1EEEvT1_,comdat
	.protected	_ZN7rocprim17ROCPRIM_400000_NS6detail17trampoline_kernelINS0_14default_configENS1_25partition_config_selectorILNS1_17partition_subalgoE9EllbEEZZNS1_14partition_implILS5_9ELb0ES3_jPKlN6thrust23THRUST_200600_302600_NS17counting_iteratorIlNSB_11use_defaultESD_SD_EEPNS0_10empty_typeENS0_5tupleIJPlSF_EEENSH_IJSI_SG_EEENS0_18inequality_wrapperIN6hipcub16HIPCUB_304000_NS8EqualityEEESI_JSF_EEE10hipError_tPvRmT3_T4_T5_T6_T7_T9_mT8_P12ihipStream_tbDpT10_ENKUlT_T0_E_clISt17integral_constantIbLb0EES19_EEDaS14_S15_EUlS14_E_NS1_11comp_targetILNS1_3genE3ELNS1_11target_archE908ELNS1_3gpuE7ELNS1_3repE0EEENS1_30default_config_static_selectorELNS0_4arch9wavefront6targetE1EEEvT1_ ; -- Begin function _ZN7rocprim17ROCPRIM_400000_NS6detail17trampoline_kernelINS0_14default_configENS1_25partition_config_selectorILNS1_17partition_subalgoE9EllbEEZZNS1_14partition_implILS5_9ELb0ES3_jPKlN6thrust23THRUST_200600_302600_NS17counting_iteratorIlNSB_11use_defaultESD_SD_EEPNS0_10empty_typeENS0_5tupleIJPlSF_EEENSH_IJSI_SG_EEENS0_18inequality_wrapperIN6hipcub16HIPCUB_304000_NS8EqualityEEESI_JSF_EEE10hipError_tPvRmT3_T4_T5_T6_T7_T9_mT8_P12ihipStream_tbDpT10_ENKUlT_T0_E_clISt17integral_constantIbLb0EES19_EEDaS14_S15_EUlS14_E_NS1_11comp_targetILNS1_3genE3ELNS1_11target_archE908ELNS1_3gpuE7ELNS1_3repE0EEENS1_30default_config_static_selectorELNS0_4arch9wavefront6targetE1EEEvT1_
	.globl	_ZN7rocprim17ROCPRIM_400000_NS6detail17trampoline_kernelINS0_14default_configENS1_25partition_config_selectorILNS1_17partition_subalgoE9EllbEEZZNS1_14partition_implILS5_9ELb0ES3_jPKlN6thrust23THRUST_200600_302600_NS17counting_iteratorIlNSB_11use_defaultESD_SD_EEPNS0_10empty_typeENS0_5tupleIJPlSF_EEENSH_IJSI_SG_EEENS0_18inequality_wrapperIN6hipcub16HIPCUB_304000_NS8EqualityEEESI_JSF_EEE10hipError_tPvRmT3_T4_T5_T6_T7_T9_mT8_P12ihipStream_tbDpT10_ENKUlT_T0_E_clISt17integral_constantIbLb0EES19_EEDaS14_S15_EUlS14_E_NS1_11comp_targetILNS1_3genE3ELNS1_11target_archE908ELNS1_3gpuE7ELNS1_3repE0EEENS1_30default_config_static_selectorELNS0_4arch9wavefront6targetE1EEEvT1_
	.p2align	8
	.type	_ZN7rocprim17ROCPRIM_400000_NS6detail17trampoline_kernelINS0_14default_configENS1_25partition_config_selectorILNS1_17partition_subalgoE9EllbEEZZNS1_14partition_implILS5_9ELb0ES3_jPKlN6thrust23THRUST_200600_302600_NS17counting_iteratorIlNSB_11use_defaultESD_SD_EEPNS0_10empty_typeENS0_5tupleIJPlSF_EEENSH_IJSI_SG_EEENS0_18inequality_wrapperIN6hipcub16HIPCUB_304000_NS8EqualityEEESI_JSF_EEE10hipError_tPvRmT3_T4_T5_T6_T7_T9_mT8_P12ihipStream_tbDpT10_ENKUlT_T0_E_clISt17integral_constantIbLb0EES19_EEDaS14_S15_EUlS14_E_NS1_11comp_targetILNS1_3genE3ELNS1_11target_archE908ELNS1_3gpuE7ELNS1_3repE0EEENS1_30default_config_static_selectorELNS0_4arch9wavefront6targetE1EEEvT1_,@function
_ZN7rocprim17ROCPRIM_400000_NS6detail17trampoline_kernelINS0_14default_configENS1_25partition_config_selectorILNS1_17partition_subalgoE9EllbEEZZNS1_14partition_implILS5_9ELb0ES3_jPKlN6thrust23THRUST_200600_302600_NS17counting_iteratorIlNSB_11use_defaultESD_SD_EEPNS0_10empty_typeENS0_5tupleIJPlSF_EEENSH_IJSI_SG_EEENS0_18inequality_wrapperIN6hipcub16HIPCUB_304000_NS8EqualityEEESI_JSF_EEE10hipError_tPvRmT3_T4_T5_T6_T7_T9_mT8_P12ihipStream_tbDpT10_ENKUlT_T0_E_clISt17integral_constantIbLb0EES19_EEDaS14_S15_EUlS14_E_NS1_11comp_targetILNS1_3genE3ELNS1_11target_archE908ELNS1_3gpuE7ELNS1_3repE0EEENS1_30default_config_static_selectorELNS0_4arch9wavefront6targetE1EEEvT1_: ; @_ZN7rocprim17ROCPRIM_400000_NS6detail17trampoline_kernelINS0_14default_configENS1_25partition_config_selectorILNS1_17partition_subalgoE9EllbEEZZNS1_14partition_implILS5_9ELb0ES3_jPKlN6thrust23THRUST_200600_302600_NS17counting_iteratorIlNSB_11use_defaultESD_SD_EEPNS0_10empty_typeENS0_5tupleIJPlSF_EEENSH_IJSI_SG_EEENS0_18inequality_wrapperIN6hipcub16HIPCUB_304000_NS8EqualityEEESI_JSF_EEE10hipError_tPvRmT3_T4_T5_T6_T7_T9_mT8_P12ihipStream_tbDpT10_ENKUlT_T0_E_clISt17integral_constantIbLb0EES19_EEDaS14_S15_EUlS14_E_NS1_11comp_targetILNS1_3genE3ELNS1_11target_archE908ELNS1_3gpuE7ELNS1_3repE0EEENS1_30default_config_static_selectorELNS0_4arch9wavefront6targetE1EEEvT1_
; %bb.0:
	.section	.rodata,"a",@progbits
	.p2align	6, 0x0
	.amdhsa_kernel _ZN7rocprim17ROCPRIM_400000_NS6detail17trampoline_kernelINS0_14default_configENS1_25partition_config_selectorILNS1_17partition_subalgoE9EllbEEZZNS1_14partition_implILS5_9ELb0ES3_jPKlN6thrust23THRUST_200600_302600_NS17counting_iteratorIlNSB_11use_defaultESD_SD_EEPNS0_10empty_typeENS0_5tupleIJPlSF_EEENSH_IJSI_SG_EEENS0_18inequality_wrapperIN6hipcub16HIPCUB_304000_NS8EqualityEEESI_JSF_EEE10hipError_tPvRmT3_T4_T5_T6_T7_T9_mT8_P12ihipStream_tbDpT10_ENKUlT_T0_E_clISt17integral_constantIbLb0EES19_EEDaS14_S15_EUlS14_E_NS1_11comp_targetILNS1_3genE3ELNS1_11target_archE908ELNS1_3gpuE7ELNS1_3repE0EEENS1_30default_config_static_selectorELNS0_4arch9wavefront6targetE1EEEvT1_
		.amdhsa_group_segment_fixed_size 0
		.amdhsa_private_segment_fixed_size 0
		.amdhsa_kernarg_size 112
		.amdhsa_user_sgpr_count 6
		.amdhsa_user_sgpr_private_segment_buffer 1
		.amdhsa_user_sgpr_dispatch_ptr 0
		.amdhsa_user_sgpr_queue_ptr 0
		.amdhsa_user_sgpr_kernarg_segment_ptr 1
		.amdhsa_user_sgpr_dispatch_id 0
		.amdhsa_user_sgpr_flat_scratch_init 0
		.amdhsa_user_sgpr_kernarg_preload_length 0
		.amdhsa_user_sgpr_kernarg_preload_offset 0
		.amdhsa_user_sgpr_private_segment_size 0
		.amdhsa_uses_dynamic_stack 0
		.amdhsa_system_sgpr_private_segment_wavefront_offset 0
		.amdhsa_system_sgpr_workgroup_id_x 1
		.amdhsa_system_sgpr_workgroup_id_y 0
		.amdhsa_system_sgpr_workgroup_id_z 0
		.amdhsa_system_sgpr_workgroup_info 0
		.amdhsa_system_vgpr_workitem_id 0
		.amdhsa_next_free_vgpr 1
		.amdhsa_next_free_sgpr 0
		.amdhsa_accum_offset 4
		.amdhsa_reserve_vcc 0
		.amdhsa_reserve_flat_scratch 0
		.amdhsa_float_round_mode_32 0
		.amdhsa_float_round_mode_16_64 0
		.amdhsa_float_denorm_mode_32 3
		.amdhsa_float_denorm_mode_16_64 3
		.amdhsa_dx10_clamp 1
		.amdhsa_ieee_mode 1
		.amdhsa_fp16_overflow 0
		.amdhsa_tg_split 0
		.amdhsa_exception_fp_ieee_invalid_op 0
		.amdhsa_exception_fp_denorm_src 0
		.amdhsa_exception_fp_ieee_div_zero 0
		.amdhsa_exception_fp_ieee_overflow 0
		.amdhsa_exception_fp_ieee_underflow 0
		.amdhsa_exception_fp_ieee_inexact 0
		.amdhsa_exception_int_div_zero 0
	.end_amdhsa_kernel
	.section	.text._ZN7rocprim17ROCPRIM_400000_NS6detail17trampoline_kernelINS0_14default_configENS1_25partition_config_selectorILNS1_17partition_subalgoE9EllbEEZZNS1_14partition_implILS5_9ELb0ES3_jPKlN6thrust23THRUST_200600_302600_NS17counting_iteratorIlNSB_11use_defaultESD_SD_EEPNS0_10empty_typeENS0_5tupleIJPlSF_EEENSH_IJSI_SG_EEENS0_18inequality_wrapperIN6hipcub16HIPCUB_304000_NS8EqualityEEESI_JSF_EEE10hipError_tPvRmT3_T4_T5_T6_T7_T9_mT8_P12ihipStream_tbDpT10_ENKUlT_T0_E_clISt17integral_constantIbLb0EES19_EEDaS14_S15_EUlS14_E_NS1_11comp_targetILNS1_3genE3ELNS1_11target_archE908ELNS1_3gpuE7ELNS1_3repE0EEENS1_30default_config_static_selectorELNS0_4arch9wavefront6targetE1EEEvT1_,"axG",@progbits,_ZN7rocprim17ROCPRIM_400000_NS6detail17trampoline_kernelINS0_14default_configENS1_25partition_config_selectorILNS1_17partition_subalgoE9EllbEEZZNS1_14partition_implILS5_9ELb0ES3_jPKlN6thrust23THRUST_200600_302600_NS17counting_iteratorIlNSB_11use_defaultESD_SD_EEPNS0_10empty_typeENS0_5tupleIJPlSF_EEENSH_IJSI_SG_EEENS0_18inequality_wrapperIN6hipcub16HIPCUB_304000_NS8EqualityEEESI_JSF_EEE10hipError_tPvRmT3_T4_T5_T6_T7_T9_mT8_P12ihipStream_tbDpT10_ENKUlT_T0_E_clISt17integral_constantIbLb0EES19_EEDaS14_S15_EUlS14_E_NS1_11comp_targetILNS1_3genE3ELNS1_11target_archE908ELNS1_3gpuE7ELNS1_3repE0EEENS1_30default_config_static_selectorELNS0_4arch9wavefront6targetE1EEEvT1_,comdat
.Lfunc_end47:
	.size	_ZN7rocprim17ROCPRIM_400000_NS6detail17trampoline_kernelINS0_14default_configENS1_25partition_config_selectorILNS1_17partition_subalgoE9EllbEEZZNS1_14partition_implILS5_9ELb0ES3_jPKlN6thrust23THRUST_200600_302600_NS17counting_iteratorIlNSB_11use_defaultESD_SD_EEPNS0_10empty_typeENS0_5tupleIJPlSF_EEENSH_IJSI_SG_EEENS0_18inequality_wrapperIN6hipcub16HIPCUB_304000_NS8EqualityEEESI_JSF_EEE10hipError_tPvRmT3_T4_T5_T6_T7_T9_mT8_P12ihipStream_tbDpT10_ENKUlT_T0_E_clISt17integral_constantIbLb0EES19_EEDaS14_S15_EUlS14_E_NS1_11comp_targetILNS1_3genE3ELNS1_11target_archE908ELNS1_3gpuE7ELNS1_3repE0EEENS1_30default_config_static_selectorELNS0_4arch9wavefront6targetE1EEEvT1_, .Lfunc_end47-_ZN7rocprim17ROCPRIM_400000_NS6detail17trampoline_kernelINS0_14default_configENS1_25partition_config_selectorILNS1_17partition_subalgoE9EllbEEZZNS1_14partition_implILS5_9ELb0ES3_jPKlN6thrust23THRUST_200600_302600_NS17counting_iteratorIlNSB_11use_defaultESD_SD_EEPNS0_10empty_typeENS0_5tupleIJPlSF_EEENSH_IJSI_SG_EEENS0_18inequality_wrapperIN6hipcub16HIPCUB_304000_NS8EqualityEEESI_JSF_EEE10hipError_tPvRmT3_T4_T5_T6_T7_T9_mT8_P12ihipStream_tbDpT10_ENKUlT_T0_E_clISt17integral_constantIbLb0EES19_EEDaS14_S15_EUlS14_E_NS1_11comp_targetILNS1_3genE3ELNS1_11target_archE908ELNS1_3gpuE7ELNS1_3repE0EEENS1_30default_config_static_selectorELNS0_4arch9wavefront6targetE1EEEvT1_
                                        ; -- End function
	.section	.AMDGPU.csdata,"",@progbits
; Kernel info:
; codeLenInByte = 0
; NumSgprs: 4
; NumVgprs: 0
; NumAgprs: 0
; TotalNumVgprs: 0
; ScratchSize: 0
; MemoryBound: 0
; FloatMode: 240
; IeeeMode: 1
; LDSByteSize: 0 bytes/workgroup (compile time only)
; SGPRBlocks: 0
; VGPRBlocks: 0
; NumSGPRsForWavesPerEU: 4
; NumVGPRsForWavesPerEU: 1
; AccumOffset: 4
; Occupancy: 8
; WaveLimiterHint : 0
; COMPUTE_PGM_RSRC2:SCRATCH_EN: 0
; COMPUTE_PGM_RSRC2:USER_SGPR: 6
; COMPUTE_PGM_RSRC2:TRAP_HANDLER: 0
; COMPUTE_PGM_RSRC2:TGID_X_EN: 1
; COMPUTE_PGM_RSRC2:TGID_Y_EN: 0
; COMPUTE_PGM_RSRC2:TGID_Z_EN: 0
; COMPUTE_PGM_RSRC2:TIDIG_COMP_CNT: 0
; COMPUTE_PGM_RSRC3_GFX90A:ACCUM_OFFSET: 0
; COMPUTE_PGM_RSRC3_GFX90A:TG_SPLIT: 0
	.section	.text._ZN7rocprim17ROCPRIM_400000_NS6detail17trampoline_kernelINS0_14default_configENS1_25partition_config_selectorILNS1_17partition_subalgoE9EllbEEZZNS1_14partition_implILS5_9ELb0ES3_jPKlN6thrust23THRUST_200600_302600_NS17counting_iteratorIlNSB_11use_defaultESD_SD_EEPNS0_10empty_typeENS0_5tupleIJPlSF_EEENSH_IJSI_SG_EEENS0_18inequality_wrapperIN6hipcub16HIPCUB_304000_NS8EqualityEEESI_JSF_EEE10hipError_tPvRmT3_T4_T5_T6_T7_T9_mT8_P12ihipStream_tbDpT10_ENKUlT_T0_E_clISt17integral_constantIbLb0EES19_EEDaS14_S15_EUlS14_E_NS1_11comp_targetILNS1_3genE2ELNS1_11target_archE906ELNS1_3gpuE6ELNS1_3repE0EEENS1_30default_config_static_selectorELNS0_4arch9wavefront6targetE1EEEvT1_,"axG",@progbits,_ZN7rocprim17ROCPRIM_400000_NS6detail17trampoline_kernelINS0_14default_configENS1_25partition_config_selectorILNS1_17partition_subalgoE9EllbEEZZNS1_14partition_implILS5_9ELb0ES3_jPKlN6thrust23THRUST_200600_302600_NS17counting_iteratorIlNSB_11use_defaultESD_SD_EEPNS0_10empty_typeENS0_5tupleIJPlSF_EEENSH_IJSI_SG_EEENS0_18inequality_wrapperIN6hipcub16HIPCUB_304000_NS8EqualityEEESI_JSF_EEE10hipError_tPvRmT3_T4_T5_T6_T7_T9_mT8_P12ihipStream_tbDpT10_ENKUlT_T0_E_clISt17integral_constantIbLb0EES19_EEDaS14_S15_EUlS14_E_NS1_11comp_targetILNS1_3genE2ELNS1_11target_archE906ELNS1_3gpuE6ELNS1_3repE0EEENS1_30default_config_static_selectorELNS0_4arch9wavefront6targetE1EEEvT1_,comdat
	.protected	_ZN7rocprim17ROCPRIM_400000_NS6detail17trampoline_kernelINS0_14default_configENS1_25partition_config_selectorILNS1_17partition_subalgoE9EllbEEZZNS1_14partition_implILS5_9ELb0ES3_jPKlN6thrust23THRUST_200600_302600_NS17counting_iteratorIlNSB_11use_defaultESD_SD_EEPNS0_10empty_typeENS0_5tupleIJPlSF_EEENSH_IJSI_SG_EEENS0_18inequality_wrapperIN6hipcub16HIPCUB_304000_NS8EqualityEEESI_JSF_EEE10hipError_tPvRmT3_T4_T5_T6_T7_T9_mT8_P12ihipStream_tbDpT10_ENKUlT_T0_E_clISt17integral_constantIbLb0EES19_EEDaS14_S15_EUlS14_E_NS1_11comp_targetILNS1_3genE2ELNS1_11target_archE906ELNS1_3gpuE6ELNS1_3repE0EEENS1_30default_config_static_selectorELNS0_4arch9wavefront6targetE1EEEvT1_ ; -- Begin function _ZN7rocprim17ROCPRIM_400000_NS6detail17trampoline_kernelINS0_14default_configENS1_25partition_config_selectorILNS1_17partition_subalgoE9EllbEEZZNS1_14partition_implILS5_9ELb0ES3_jPKlN6thrust23THRUST_200600_302600_NS17counting_iteratorIlNSB_11use_defaultESD_SD_EEPNS0_10empty_typeENS0_5tupleIJPlSF_EEENSH_IJSI_SG_EEENS0_18inequality_wrapperIN6hipcub16HIPCUB_304000_NS8EqualityEEESI_JSF_EEE10hipError_tPvRmT3_T4_T5_T6_T7_T9_mT8_P12ihipStream_tbDpT10_ENKUlT_T0_E_clISt17integral_constantIbLb0EES19_EEDaS14_S15_EUlS14_E_NS1_11comp_targetILNS1_3genE2ELNS1_11target_archE906ELNS1_3gpuE6ELNS1_3repE0EEENS1_30default_config_static_selectorELNS0_4arch9wavefront6targetE1EEEvT1_
	.globl	_ZN7rocprim17ROCPRIM_400000_NS6detail17trampoline_kernelINS0_14default_configENS1_25partition_config_selectorILNS1_17partition_subalgoE9EllbEEZZNS1_14partition_implILS5_9ELb0ES3_jPKlN6thrust23THRUST_200600_302600_NS17counting_iteratorIlNSB_11use_defaultESD_SD_EEPNS0_10empty_typeENS0_5tupleIJPlSF_EEENSH_IJSI_SG_EEENS0_18inequality_wrapperIN6hipcub16HIPCUB_304000_NS8EqualityEEESI_JSF_EEE10hipError_tPvRmT3_T4_T5_T6_T7_T9_mT8_P12ihipStream_tbDpT10_ENKUlT_T0_E_clISt17integral_constantIbLb0EES19_EEDaS14_S15_EUlS14_E_NS1_11comp_targetILNS1_3genE2ELNS1_11target_archE906ELNS1_3gpuE6ELNS1_3repE0EEENS1_30default_config_static_selectorELNS0_4arch9wavefront6targetE1EEEvT1_
	.p2align	8
	.type	_ZN7rocprim17ROCPRIM_400000_NS6detail17trampoline_kernelINS0_14default_configENS1_25partition_config_selectorILNS1_17partition_subalgoE9EllbEEZZNS1_14partition_implILS5_9ELb0ES3_jPKlN6thrust23THRUST_200600_302600_NS17counting_iteratorIlNSB_11use_defaultESD_SD_EEPNS0_10empty_typeENS0_5tupleIJPlSF_EEENSH_IJSI_SG_EEENS0_18inequality_wrapperIN6hipcub16HIPCUB_304000_NS8EqualityEEESI_JSF_EEE10hipError_tPvRmT3_T4_T5_T6_T7_T9_mT8_P12ihipStream_tbDpT10_ENKUlT_T0_E_clISt17integral_constantIbLb0EES19_EEDaS14_S15_EUlS14_E_NS1_11comp_targetILNS1_3genE2ELNS1_11target_archE906ELNS1_3gpuE6ELNS1_3repE0EEENS1_30default_config_static_selectorELNS0_4arch9wavefront6targetE1EEEvT1_,@function
_ZN7rocprim17ROCPRIM_400000_NS6detail17trampoline_kernelINS0_14default_configENS1_25partition_config_selectorILNS1_17partition_subalgoE9EllbEEZZNS1_14partition_implILS5_9ELb0ES3_jPKlN6thrust23THRUST_200600_302600_NS17counting_iteratorIlNSB_11use_defaultESD_SD_EEPNS0_10empty_typeENS0_5tupleIJPlSF_EEENSH_IJSI_SG_EEENS0_18inequality_wrapperIN6hipcub16HIPCUB_304000_NS8EqualityEEESI_JSF_EEE10hipError_tPvRmT3_T4_T5_T6_T7_T9_mT8_P12ihipStream_tbDpT10_ENKUlT_T0_E_clISt17integral_constantIbLb0EES19_EEDaS14_S15_EUlS14_E_NS1_11comp_targetILNS1_3genE2ELNS1_11target_archE906ELNS1_3gpuE6ELNS1_3repE0EEENS1_30default_config_static_selectorELNS0_4arch9wavefront6targetE1EEEvT1_: ; @_ZN7rocprim17ROCPRIM_400000_NS6detail17trampoline_kernelINS0_14default_configENS1_25partition_config_selectorILNS1_17partition_subalgoE9EllbEEZZNS1_14partition_implILS5_9ELb0ES3_jPKlN6thrust23THRUST_200600_302600_NS17counting_iteratorIlNSB_11use_defaultESD_SD_EEPNS0_10empty_typeENS0_5tupleIJPlSF_EEENSH_IJSI_SG_EEENS0_18inequality_wrapperIN6hipcub16HIPCUB_304000_NS8EqualityEEESI_JSF_EEE10hipError_tPvRmT3_T4_T5_T6_T7_T9_mT8_P12ihipStream_tbDpT10_ENKUlT_T0_E_clISt17integral_constantIbLb0EES19_EEDaS14_S15_EUlS14_E_NS1_11comp_targetILNS1_3genE2ELNS1_11target_archE906ELNS1_3gpuE6ELNS1_3repE0EEENS1_30default_config_static_selectorELNS0_4arch9wavefront6targetE1EEEvT1_
; %bb.0:
	.section	.rodata,"a",@progbits
	.p2align	6, 0x0
	.amdhsa_kernel _ZN7rocprim17ROCPRIM_400000_NS6detail17trampoline_kernelINS0_14default_configENS1_25partition_config_selectorILNS1_17partition_subalgoE9EllbEEZZNS1_14partition_implILS5_9ELb0ES3_jPKlN6thrust23THRUST_200600_302600_NS17counting_iteratorIlNSB_11use_defaultESD_SD_EEPNS0_10empty_typeENS0_5tupleIJPlSF_EEENSH_IJSI_SG_EEENS0_18inequality_wrapperIN6hipcub16HIPCUB_304000_NS8EqualityEEESI_JSF_EEE10hipError_tPvRmT3_T4_T5_T6_T7_T9_mT8_P12ihipStream_tbDpT10_ENKUlT_T0_E_clISt17integral_constantIbLb0EES19_EEDaS14_S15_EUlS14_E_NS1_11comp_targetILNS1_3genE2ELNS1_11target_archE906ELNS1_3gpuE6ELNS1_3repE0EEENS1_30default_config_static_selectorELNS0_4arch9wavefront6targetE1EEEvT1_
		.amdhsa_group_segment_fixed_size 0
		.amdhsa_private_segment_fixed_size 0
		.amdhsa_kernarg_size 112
		.amdhsa_user_sgpr_count 6
		.amdhsa_user_sgpr_private_segment_buffer 1
		.amdhsa_user_sgpr_dispatch_ptr 0
		.amdhsa_user_sgpr_queue_ptr 0
		.amdhsa_user_sgpr_kernarg_segment_ptr 1
		.amdhsa_user_sgpr_dispatch_id 0
		.amdhsa_user_sgpr_flat_scratch_init 0
		.amdhsa_user_sgpr_kernarg_preload_length 0
		.amdhsa_user_sgpr_kernarg_preload_offset 0
		.amdhsa_user_sgpr_private_segment_size 0
		.amdhsa_uses_dynamic_stack 0
		.amdhsa_system_sgpr_private_segment_wavefront_offset 0
		.amdhsa_system_sgpr_workgroup_id_x 1
		.amdhsa_system_sgpr_workgroup_id_y 0
		.amdhsa_system_sgpr_workgroup_id_z 0
		.amdhsa_system_sgpr_workgroup_info 0
		.amdhsa_system_vgpr_workitem_id 0
		.amdhsa_next_free_vgpr 1
		.amdhsa_next_free_sgpr 0
		.amdhsa_accum_offset 4
		.amdhsa_reserve_vcc 0
		.amdhsa_reserve_flat_scratch 0
		.amdhsa_float_round_mode_32 0
		.amdhsa_float_round_mode_16_64 0
		.amdhsa_float_denorm_mode_32 3
		.amdhsa_float_denorm_mode_16_64 3
		.amdhsa_dx10_clamp 1
		.amdhsa_ieee_mode 1
		.amdhsa_fp16_overflow 0
		.amdhsa_tg_split 0
		.amdhsa_exception_fp_ieee_invalid_op 0
		.amdhsa_exception_fp_denorm_src 0
		.amdhsa_exception_fp_ieee_div_zero 0
		.amdhsa_exception_fp_ieee_overflow 0
		.amdhsa_exception_fp_ieee_underflow 0
		.amdhsa_exception_fp_ieee_inexact 0
		.amdhsa_exception_int_div_zero 0
	.end_amdhsa_kernel
	.section	.text._ZN7rocprim17ROCPRIM_400000_NS6detail17trampoline_kernelINS0_14default_configENS1_25partition_config_selectorILNS1_17partition_subalgoE9EllbEEZZNS1_14partition_implILS5_9ELb0ES3_jPKlN6thrust23THRUST_200600_302600_NS17counting_iteratorIlNSB_11use_defaultESD_SD_EEPNS0_10empty_typeENS0_5tupleIJPlSF_EEENSH_IJSI_SG_EEENS0_18inequality_wrapperIN6hipcub16HIPCUB_304000_NS8EqualityEEESI_JSF_EEE10hipError_tPvRmT3_T4_T5_T6_T7_T9_mT8_P12ihipStream_tbDpT10_ENKUlT_T0_E_clISt17integral_constantIbLb0EES19_EEDaS14_S15_EUlS14_E_NS1_11comp_targetILNS1_3genE2ELNS1_11target_archE906ELNS1_3gpuE6ELNS1_3repE0EEENS1_30default_config_static_selectorELNS0_4arch9wavefront6targetE1EEEvT1_,"axG",@progbits,_ZN7rocprim17ROCPRIM_400000_NS6detail17trampoline_kernelINS0_14default_configENS1_25partition_config_selectorILNS1_17partition_subalgoE9EllbEEZZNS1_14partition_implILS5_9ELb0ES3_jPKlN6thrust23THRUST_200600_302600_NS17counting_iteratorIlNSB_11use_defaultESD_SD_EEPNS0_10empty_typeENS0_5tupleIJPlSF_EEENSH_IJSI_SG_EEENS0_18inequality_wrapperIN6hipcub16HIPCUB_304000_NS8EqualityEEESI_JSF_EEE10hipError_tPvRmT3_T4_T5_T6_T7_T9_mT8_P12ihipStream_tbDpT10_ENKUlT_T0_E_clISt17integral_constantIbLb0EES19_EEDaS14_S15_EUlS14_E_NS1_11comp_targetILNS1_3genE2ELNS1_11target_archE906ELNS1_3gpuE6ELNS1_3repE0EEENS1_30default_config_static_selectorELNS0_4arch9wavefront6targetE1EEEvT1_,comdat
.Lfunc_end48:
	.size	_ZN7rocprim17ROCPRIM_400000_NS6detail17trampoline_kernelINS0_14default_configENS1_25partition_config_selectorILNS1_17partition_subalgoE9EllbEEZZNS1_14partition_implILS5_9ELb0ES3_jPKlN6thrust23THRUST_200600_302600_NS17counting_iteratorIlNSB_11use_defaultESD_SD_EEPNS0_10empty_typeENS0_5tupleIJPlSF_EEENSH_IJSI_SG_EEENS0_18inequality_wrapperIN6hipcub16HIPCUB_304000_NS8EqualityEEESI_JSF_EEE10hipError_tPvRmT3_T4_T5_T6_T7_T9_mT8_P12ihipStream_tbDpT10_ENKUlT_T0_E_clISt17integral_constantIbLb0EES19_EEDaS14_S15_EUlS14_E_NS1_11comp_targetILNS1_3genE2ELNS1_11target_archE906ELNS1_3gpuE6ELNS1_3repE0EEENS1_30default_config_static_selectorELNS0_4arch9wavefront6targetE1EEEvT1_, .Lfunc_end48-_ZN7rocprim17ROCPRIM_400000_NS6detail17trampoline_kernelINS0_14default_configENS1_25partition_config_selectorILNS1_17partition_subalgoE9EllbEEZZNS1_14partition_implILS5_9ELb0ES3_jPKlN6thrust23THRUST_200600_302600_NS17counting_iteratorIlNSB_11use_defaultESD_SD_EEPNS0_10empty_typeENS0_5tupleIJPlSF_EEENSH_IJSI_SG_EEENS0_18inequality_wrapperIN6hipcub16HIPCUB_304000_NS8EqualityEEESI_JSF_EEE10hipError_tPvRmT3_T4_T5_T6_T7_T9_mT8_P12ihipStream_tbDpT10_ENKUlT_T0_E_clISt17integral_constantIbLb0EES19_EEDaS14_S15_EUlS14_E_NS1_11comp_targetILNS1_3genE2ELNS1_11target_archE906ELNS1_3gpuE6ELNS1_3repE0EEENS1_30default_config_static_selectorELNS0_4arch9wavefront6targetE1EEEvT1_
                                        ; -- End function
	.section	.AMDGPU.csdata,"",@progbits
; Kernel info:
; codeLenInByte = 0
; NumSgprs: 4
; NumVgprs: 0
; NumAgprs: 0
; TotalNumVgprs: 0
; ScratchSize: 0
; MemoryBound: 0
; FloatMode: 240
; IeeeMode: 1
; LDSByteSize: 0 bytes/workgroup (compile time only)
; SGPRBlocks: 0
; VGPRBlocks: 0
; NumSGPRsForWavesPerEU: 4
; NumVGPRsForWavesPerEU: 1
; AccumOffset: 4
; Occupancy: 8
; WaveLimiterHint : 0
; COMPUTE_PGM_RSRC2:SCRATCH_EN: 0
; COMPUTE_PGM_RSRC2:USER_SGPR: 6
; COMPUTE_PGM_RSRC2:TRAP_HANDLER: 0
; COMPUTE_PGM_RSRC2:TGID_X_EN: 1
; COMPUTE_PGM_RSRC2:TGID_Y_EN: 0
; COMPUTE_PGM_RSRC2:TGID_Z_EN: 0
; COMPUTE_PGM_RSRC2:TIDIG_COMP_CNT: 0
; COMPUTE_PGM_RSRC3_GFX90A:ACCUM_OFFSET: 0
; COMPUTE_PGM_RSRC3_GFX90A:TG_SPLIT: 0
	.section	.text._ZN7rocprim17ROCPRIM_400000_NS6detail17trampoline_kernelINS0_14default_configENS1_25partition_config_selectorILNS1_17partition_subalgoE9EllbEEZZNS1_14partition_implILS5_9ELb0ES3_jPKlN6thrust23THRUST_200600_302600_NS17counting_iteratorIlNSB_11use_defaultESD_SD_EEPNS0_10empty_typeENS0_5tupleIJPlSF_EEENSH_IJSI_SG_EEENS0_18inequality_wrapperIN6hipcub16HIPCUB_304000_NS8EqualityEEESI_JSF_EEE10hipError_tPvRmT3_T4_T5_T6_T7_T9_mT8_P12ihipStream_tbDpT10_ENKUlT_T0_E_clISt17integral_constantIbLb0EES19_EEDaS14_S15_EUlS14_E_NS1_11comp_targetILNS1_3genE10ELNS1_11target_archE1200ELNS1_3gpuE4ELNS1_3repE0EEENS1_30default_config_static_selectorELNS0_4arch9wavefront6targetE1EEEvT1_,"axG",@progbits,_ZN7rocprim17ROCPRIM_400000_NS6detail17trampoline_kernelINS0_14default_configENS1_25partition_config_selectorILNS1_17partition_subalgoE9EllbEEZZNS1_14partition_implILS5_9ELb0ES3_jPKlN6thrust23THRUST_200600_302600_NS17counting_iteratorIlNSB_11use_defaultESD_SD_EEPNS0_10empty_typeENS0_5tupleIJPlSF_EEENSH_IJSI_SG_EEENS0_18inequality_wrapperIN6hipcub16HIPCUB_304000_NS8EqualityEEESI_JSF_EEE10hipError_tPvRmT3_T4_T5_T6_T7_T9_mT8_P12ihipStream_tbDpT10_ENKUlT_T0_E_clISt17integral_constantIbLb0EES19_EEDaS14_S15_EUlS14_E_NS1_11comp_targetILNS1_3genE10ELNS1_11target_archE1200ELNS1_3gpuE4ELNS1_3repE0EEENS1_30default_config_static_selectorELNS0_4arch9wavefront6targetE1EEEvT1_,comdat
	.protected	_ZN7rocprim17ROCPRIM_400000_NS6detail17trampoline_kernelINS0_14default_configENS1_25partition_config_selectorILNS1_17partition_subalgoE9EllbEEZZNS1_14partition_implILS5_9ELb0ES3_jPKlN6thrust23THRUST_200600_302600_NS17counting_iteratorIlNSB_11use_defaultESD_SD_EEPNS0_10empty_typeENS0_5tupleIJPlSF_EEENSH_IJSI_SG_EEENS0_18inequality_wrapperIN6hipcub16HIPCUB_304000_NS8EqualityEEESI_JSF_EEE10hipError_tPvRmT3_T4_T5_T6_T7_T9_mT8_P12ihipStream_tbDpT10_ENKUlT_T0_E_clISt17integral_constantIbLb0EES19_EEDaS14_S15_EUlS14_E_NS1_11comp_targetILNS1_3genE10ELNS1_11target_archE1200ELNS1_3gpuE4ELNS1_3repE0EEENS1_30default_config_static_selectorELNS0_4arch9wavefront6targetE1EEEvT1_ ; -- Begin function _ZN7rocprim17ROCPRIM_400000_NS6detail17trampoline_kernelINS0_14default_configENS1_25partition_config_selectorILNS1_17partition_subalgoE9EllbEEZZNS1_14partition_implILS5_9ELb0ES3_jPKlN6thrust23THRUST_200600_302600_NS17counting_iteratorIlNSB_11use_defaultESD_SD_EEPNS0_10empty_typeENS0_5tupleIJPlSF_EEENSH_IJSI_SG_EEENS0_18inequality_wrapperIN6hipcub16HIPCUB_304000_NS8EqualityEEESI_JSF_EEE10hipError_tPvRmT3_T4_T5_T6_T7_T9_mT8_P12ihipStream_tbDpT10_ENKUlT_T0_E_clISt17integral_constantIbLb0EES19_EEDaS14_S15_EUlS14_E_NS1_11comp_targetILNS1_3genE10ELNS1_11target_archE1200ELNS1_3gpuE4ELNS1_3repE0EEENS1_30default_config_static_selectorELNS0_4arch9wavefront6targetE1EEEvT1_
	.globl	_ZN7rocprim17ROCPRIM_400000_NS6detail17trampoline_kernelINS0_14default_configENS1_25partition_config_selectorILNS1_17partition_subalgoE9EllbEEZZNS1_14partition_implILS5_9ELb0ES3_jPKlN6thrust23THRUST_200600_302600_NS17counting_iteratorIlNSB_11use_defaultESD_SD_EEPNS0_10empty_typeENS0_5tupleIJPlSF_EEENSH_IJSI_SG_EEENS0_18inequality_wrapperIN6hipcub16HIPCUB_304000_NS8EqualityEEESI_JSF_EEE10hipError_tPvRmT3_T4_T5_T6_T7_T9_mT8_P12ihipStream_tbDpT10_ENKUlT_T0_E_clISt17integral_constantIbLb0EES19_EEDaS14_S15_EUlS14_E_NS1_11comp_targetILNS1_3genE10ELNS1_11target_archE1200ELNS1_3gpuE4ELNS1_3repE0EEENS1_30default_config_static_selectorELNS0_4arch9wavefront6targetE1EEEvT1_
	.p2align	8
	.type	_ZN7rocprim17ROCPRIM_400000_NS6detail17trampoline_kernelINS0_14default_configENS1_25partition_config_selectorILNS1_17partition_subalgoE9EllbEEZZNS1_14partition_implILS5_9ELb0ES3_jPKlN6thrust23THRUST_200600_302600_NS17counting_iteratorIlNSB_11use_defaultESD_SD_EEPNS0_10empty_typeENS0_5tupleIJPlSF_EEENSH_IJSI_SG_EEENS0_18inequality_wrapperIN6hipcub16HIPCUB_304000_NS8EqualityEEESI_JSF_EEE10hipError_tPvRmT3_T4_T5_T6_T7_T9_mT8_P12ihipStream_tbDpT10_ENKUlT_T0_E_clISt17integral_constantIbLb0EES19_EEDaS14_S15_EUlS14_E_NS1_11comp_targetILNS1_3genE10ELNS1_11target_archE1200ELNS1_3gpuE4ELNS1_3repE0EEENS1_30default_config_static_selectorELNS0_4arch9wavefront6targetE1EEEvT1_,@function
_ZN7rocprim17ROCPRIM_400000_NS6detail17trampoline_kernelINS0_14default_configENS1_25partition_config_selectorILNS1_17partition_subalgoE9EllbEEZZNS1_14partition_implILS5_9ELb0ES3_jPKlN6thrust23THRUST_200600_302600_NS17counting_iteratorIlNSB_11use_defaultESD_SD_EEPNS0_10empty_typeENS0_5tupleIJPlSF_EEENSH_IJSI_SG_EEENS0_18inequality_wrapperIN6hipcub16HIPCUB_304000_NS8EqualityEEESI_JSF_EEE10hipError_tPvRmT3_T4_T5_T6_T7_T9_mT8_P12ihipStream_tbDpT10_ENKUlT_T0_E_clISt17integral_constantIbLb0EES19_EEDaS14_S15_EUlS14_E_NS1_11comp_targetILNS1_3genE10ELNS1_11target_archE1200ELNS1_3gpuE4ELNS1_3repE0EEENS1_30default_config_static_selectorELNS0_4arch9wavefront6targetE1EEEvT1_: ; @_ZN7rocprim17ROCPRIM_400000_NS6detail17trampoline_kernelINS0_14default_configENS1_25partition_config_selectorILNS1_17partition_subalgoE9EllbEEZZNS1_14partition_implILS5_9ELb0ES3_jPKlN6thrust23THRUST_200600_302600_NS17counting_iteratorIlNSB_11use_defaultESD_SD_EEPNS0_10empty_typeENS0_5tupleIJPlSF_EEENSH_IJSI_SG_EEENS0_18inequality_wrapperIN6hipcub16HIPCUB_304000_NS8EqualityEEESI_JSF_EEE10hipError_tPvRmT3_T4_T5_T6_T7_T9_mT8_P12ihipStream_tbDpT10_ENKUlT_T0_E_clISt17integral_constantIbLb0EES19_EEDaS14_S15_EUlS14_E_NS1_11comp_targetILNS1_3genE10ELNS1_11target_archE1200ELNS1_3gpuE4ELNS1_3repE0EEENS1_30default_config_static_selectorELNS0_4arch9wavefront6targetE1EEEvT1_
; %bb.0:
	.section	.rodata,"a",@progbits
	.p2align	6, 0x0
	.amdhsa_kernel _ZN7rocprim17ROCPRIM_400000_NS6detail17trampoline_kernelINS0_14default_configENS1_25partition_config_selectorILNS1_17partition_subalgoE9EllbEEZZNS1_14partition_implILS5_9ELb0ES3_jPKlN6thrust23THRUST_200600_302600_NS17counting_iteratorIlNSB_11use_defaultESD_SD_EEPNS0_10empty_typeENS0_5tupleIJPlSF_EEENSH_IJSI_SG_EEENS0_18inequality_wrapperIN6hipcub16HIPCUB_304000_NS8EqualityEEESI_JSF_EEE10hipError_tPvRmT3_T4_T5_T6_T7_T9_mT8_P12ihipStream_tbDpT10_ENKUlT_T0_E_clISt17integral_constantIbLb0EES19_EEDaS14_S15_EUlS14_E_NS1_11comp_targetILNS1_3genE10ELNS1_11target_archE1200ELNS1_3gpuE4ELNS1_3repE0EEENS1_30default_config_static_selectorELNS0_4arch9wavefront6targetE1EEEvT1_
		.amdhsa_group_segment_fixed_size 0
		.amdhsa_private_segment_fixed_size 0
		.amdhsa_kernarg_size 112
		.amdhsa_user_sgpr_count 6
		.amdhsa_user_sgpr_private_segment_buffer 1
		.amdhsa_user_sgpr_dispatch_ptr 0
		.amdhsa_user_sgpr_queue_ptr 0
		.amdhsa_user_sgpr_kernarg_segment_ptr 1
		.amdhsa_user_sgpr_dispatch_id 0
		.amdhsa_user_sgpr_flat_scratch_init 0
		.amdhsa_user_sgpr_kernarg_preload_length 0
		.amdhsa_user_sgpr_kernarg_preload_offset 0
		.amdhsa_user_sgpr_private_segment_size 0
		.amdhsa_uses_dynamic_stack 0
		.amdhsa_system_sgpr_private_segment_wavefront_offset 0
		.amdhsa_system_sgpr_workgroup_id_x 1
		.amdhsa_system_sgpr_workgroup_id_y 0
		.amdhsa_system_sgpr_workgroup_id_z 0
		.amdhsa_system_sgpr_workgroup_info 0
		.amdhsa_system_vgpr_workitem_id 0
		.amdhsa_next_free_vgpr 1
		.amdhsa_next_free_sgpr 0
		.amdhsa_accum_offset 4
		.amdhsa_reserve_vcc 0
		.amdhsa_reserve_flat_scratch 0
		.amdhsa_float_round_mode_32 0
		.amdhsa_float_round_mode_16_64 0
		.amdhsa_float_denorm_mode_32 3
		.amdhsa_float_denorm_mode_16_64 3
		.amdhsa_dx10_clamp 1
		.amdhsa_ieee_mode 1
		.amdhsa_fp16_overflow 0
		.amdhsa_tg_split 0
		.amdhsa_exception_fp_ieee_invalid_op 0
		.amdhsa_exception_fp_denorm_src 0
		.amdhsa_exception_fp_ieee_div_zero 0
		.amdhsa_exception_fp_ieee_overflow 0
		.amdhsa_exception_fp_ieee_underflow 0
		.amdhsa_exception_fp_ieee_inexact 0
		.amdhsa_exception_int_div_zero 0
	.end_amdhsa_kernel
	.section	.text._ZN7rocprim17ROCPRIM_400000_NS6detail17trampoline_kernelINS0_14default_configENS1_25partition_config_selectorILNS1_17partition_subalgoE9EllbEEZZNS1_14partition_implILS5_9ELb0ES3_jPKlN6thrust23THRUST_200600_302600_NS17counting_iteratorIlNSB_11use_defaultESD_SD_EEPNS0_10empty_typeENS0_5tupleIJPlSF_EEENSH_IJSI_SG_EEENS0_18inequality_wrapperIN6hipcub16HIPCUB_304000_NS8EqualityEEESI_JSF_EEE10hipError_tPvRmT3_T4_T5_T6_T7_T9_mT8_P12ihipStream_tbDpT10_ENKUlT_T0_E_clISt17integral_constantIbLb0EES19_EEDaS14_S15_EUlS14_E_NS1_11comp_targetILNS1_3genE10ELNS1_11target_archE1200ELNS1_3gpuE4ELNS1_3repE0EEENS1_30default_config_static_selectorELNS0_4arch9wavefront6targetE1EEEvT1_,"axG",@progbits,_ZN7rocprim17ROCPRIM_400000_NS6detail17trampoline_kernelINS0_14default_configENS1_25partition_config_selectorILNS1_17partition_subalgoE9EllbEEZZNS1_14partition_implILS5_9ELb0ES3_jPKlN6thrust23THRUST_200600_302600_NS17counting_iteratorIlNSB_11use_defaultESD_SD_EEPNS0_10empty_typeENS0_5tupleIJPlSF_EEENSH_IJSI_SG_EEENS0_18inequality_wrapperIN6hipcub16HIPCUB_304000_NS8EqualityEEESI_JSF_EEE10hipError_tPvRmT3_T4_T5_T6_T7_T9_mT8_P12ihipStream_tbDpT10_ENKUlT_T0_E_clISt17integral_constantIbLb0EES19_EEDaS14_S15_EUlS14_E_NS1_11comp_targetILNS1_3genE10ELNS1_11target_archE1200ELNS1_3gpuE4ELNS1_3repE0EEENS1_30default_config_static_selectorELNS0_4arch9wavefront6targetE1EEEvT1_,comdat
.Lfunc_end49:
	.size	_ZN7rocprim17ROCPRIM_400000_NS6detail17trampoline_kernelINS0_14default_configENS1_25partition_config_selectorILNS1_17partition_subalgoE9EllbEEZZNS1_14partition_implILS5_9ELb0ES3_jPKlN6thrust23THRUST_200600_302600_NS17counting_iteratorIlNSB_11use_defaultESD_SD_EEPNS0_10empty_typeENS0_5tupleIJPlSF_EEENSH_IJSI_SG_EEENS0_18inequality_wrapperIN6hipcub16HIPCUB_304000_NS8EqualityEEESI_JSF_EEE10hipError_tPvRmT3_T4_T5_T6_T7_T9_mT8_P12ihipStream_tbDpT10_ENKUlT_T0_E_clISt17integral_constantIbLb0EES19_EEDaS14_S15_EUlS14_E_NS1_11comp_targetILNS1_3genE10ELNS1_11target_archE1200ELNS1_3gpuE4ELNS1_3repE0EEENS1_30default_config_static_selectorELNS0_4arch9wavefront6targetE1EEEvT1_, .Lfunc_end49-_ZN7rocprim17ROCPRIM_400000_NS6detail17trampoline_kernelINS0_14default_configENS1_25partition_config_selectorILNS1_17partition_subalgoE9EllbEEZZNS1_14partition_implILS5_9ELb0ES3_jPKlN6thrust23THRUST_200600_302600_NS17counting_iteratorIlNSB_11use_defaultESD_SD_EEPNS0_10empty_typeENS0_5tupleIJPlSF_EEENSH_IJSI_SG_EEENS0_18inequality_wrapperIN6hipcub16HIPCUB_304000_NS8EqualityEEESI_JSF_EEE10hipError_tPvRmT3_T4_T5_T6_T7_T9_mT8_P12ihipStream_tbDpT10_ENKUlT_T0_E_clISt17integral_constantIbLb0EES19_EEDaS14_S15_EUlS14_E_NS1_11comp_targetILNS1_3genE10ELNS1_11target_archE1200ELNS1_3gpuE4ELNS1_3repE0EEENS1_30default_config_static_selectorELNS0_4arch9wavefront6targetE1EEEvT1_
                                        ; -- End function
	.section	.AMDGPU.csdata,"",@progbits
; Kernel info:
; codeLenInByte = 0
; NumSgprs: 4
; NumVgprs: 0
; NumAgprs: 0
; TotalNumVgprs: 0
; ScratchSize: 0
; MemoryBound: 0
; FloatMode: 240
; IeeeMode: 1
; LDSByteSize: 0 bytes/workgroup (compile time only)
; SGPRBlocks: 0
; VGPRBlocks: 0
; NumSGPRsForWavesPerEU: 4
; NumVGPRsForWavesPerEU: 1
; AccumOffset: 4
; Occupancy: 8
; WaveLimiterHint : 0
; COMPUTE_PGM_RSRC2:SCRATCH_EN: 0
; COMPUTE_PGM_RSRC2:USER_SGPR: 6
; COMPUTE_PGM_RSRC2:TRAP_HANDLER: 0
; COMPUTE_PGM_RSRC2:TGID_X_EN: 1
; COMPUTE_PGM_RSRC2:TGID_Y_EN: 0
; COMPUTE_PGM_RSRC2:TGID_Z_EN: 0
; COMPUTE_PGM_RSRC2:TIDIG_COMP_CNT: 0
; COMPUTE_PGM_RSRC3_GFX90A:ACCUM_OFFSET: 0
; COMPUTE_PGM_RSRC3_GFX90A:TG_SPLIT: 0
	.section	.text._ZN7rocprim17ROCPRIM_400000_NS6detail17trampoline_kernelINS0_14default_configENS1_25partition_config_selectorILNS1_17partition_subalgoE9EllbEEZZNS1_14partition_implILS5_9ELb0ES3_jPKlN6thrust23THRUST_200600_302600_NS17counting_iteratorIlNSB_11use_defaultESD_SD_EEPNS0_10empty_typeENS0_5tupleIJPlSF_EEENSH_IJSI_SG_EEENS0_18inequality_wrapperIN6hipcub16HIPCUB_304000_NS8EqualityEEESI_JSF_EEE10hipError_tPvRmT3_T4_T5_T6_T7_T9_mT8_P12ihipStream_tbDpT10_ENKUlT_T0_E_clISt17integral_constantIbLb0EES19_EEDaS14_S15_EUlS14_E_NS1_11comp_targetILNS1_3genE9ELNS1_11target_archE1100ELNS1_3gpuE3ELNS1_3repE0EEENS1_30default_config_static_selectorELNS0_4arch9wavefront6targetE1EEEvT1_,"axG",@progbits,_ZN7rocprim17ROCPRIM_400000_NS6detail17trampoline_kernelINS0_14default_configENS1_25partition_config_selectorILNS1_17partition_subalgoE9EllbEEZZNS1_14partition_implILS5_9ELb0ES3_jPKlN6thrust23THRUST_200600_302600_NS17counting_iteratorIlNSB_11use_defaultESD_SD_EEPNS0_10empty_typeENS0_5tupleIJPlSF_EEENSH_IJSI_SG_EEENS0_18inequality_wrapperIN6hipcub16HIPCUB_304000_NS8EqualityEEESI_JSF_EEE10hipError_tPvRmT3_T4_T5_T6_T7_T9_mT8_P12ihipStream_tbDpT10_ENKUlT_T0_E_clISt17integral_constantIbLb0EES19_EEDaS14_S15_EUlS14_E_NS1_11comp_targetILNS1_3genE9ELNS1_11target_archE1100ELNS1_3gpuE3ELNS1_3repE0EEENS1_30default_config_static_selectorELNS0_4arch9wavefront6targetE1EEEvT1_,comdat
	.protected	_ZN7rocprim17ROCPRIM_400000_NS6detail17trampoline_kernelINS0_14default_configENS1_25partition_config_selectorILNS1_17partition_subalgoE9EllbEEZZNS1_14partition_implILS5_9ELb0ES3_jPKlN6thrust23THRUST_200600_302600_NS17counting_iteratorIlNSB_11use_defaultESD_SD_EEPNS0_10empty_typeENS0_5tupleIJPlSF_EEENSH_IJSI_SG_EEENS0_18inequality_wrapperIN6hipcub16HIPCUB_304000_NS8EqualityEEESI_JSF_EEE10hipError_tPvRmT3_T4_T5_T6_T7_T9_mT8_P12ihipStream_tbDpT10_ENKUlT_T0_E_clISt17integral_constantIbLb0EES19_EEDaS14_S15_EUlS14_E_NS1_11comp_targetILNS1_3genE9ELNS1_11target_archE1100ELNS1_3gpuE3ELNS1_3repE0EEENS1_30default_config_static_selectorELNS0_4arch9wavefront6targetE1EEEvT1_ ; -- Begin function _ZN7rocprim17ROCPRIM_400000_NS6detail17trampoline_kernelINS0_14default_configENS1_25partition_config_selectorILNS1_17partition_subalgoE9EllbEEZZNS1_14partition_implILS5_9ELb0ES3_jPKlN6thrust23THRUST_200600_302600_NS17counting_iteratorIlNSB_11use_defaultESD_SD_EEPNS0_10empty_typeENS0_5tupleIJPlSF_EEENSH_IJSI_SG_EEENS0_18inequality_wrapperIN6hipcub16HIPCUB_304000_NS8EqualityEEESI_JSF_EEE10hipError_tPvRmT3_T4_T5_T6_T7_T9_mT8_P12ihipStream_tbDpT10_ENKUlT_T0_E_clISt17integral_constantIbLb0EES19_EEDaS14_S15_EUlS14_E_NS1_11comp_targetILNS1_3genE9ELNS1_11target_archE1100ELNS1_3gpuE3ELNS1_3repE0EEENS1_30default_config_static_selectorELNS0_4arch9wavefront6targetE1EEEvT1_
	.globl	_ZN7rocprim17ROCPRIM_400000_NS6detail17trampoline_kernelINS0_14default_configENS1_25partition_config_selectorILNS1_17partition_subalgoE9EllbEEZZNS1_14partition_implILS5_9ELb0ES3_jPKlN6thrust23THRUST_200600_302600_NS17counting_iteratorIlNSB_11use_defaultESD_SD_EEPNS0_10empty_typeENS0_5tupleIJPlSF_EEENSH_IJSI_SG_EEENS0_18inequality_wrapperIN6hipcub16HIPCUB_304000_NS8EqualityEEESI_JSF_EEE10hipError_tPvRmT3_T4_T5_T6_T7_T9_mT8_P12ihipStream_tbDpT10_ENKUlT_T0_E_clISt17integral_constantIbLb0EES19_EEDaS14_S15_EUlS14_E_NS1_11comp_targetILNS1_3genE9ELNS1_11target_archE1100ELNS1_3gpuE3ELNS1_3repE0EEENS1_30default_config_static_selectorELNS0_4arch9wavefront6targetE1EEEvT1_
	.p2align	8
	.type	_ZN7rocprim17ROCPRIM_400000_NS6detail17trampoline_kernelINS0_14default_configENS1_25partition_config_selectorILNS1_17partition_subalgoE9EllbEEZZNS1_14partition_implILS5_9ELb0ES3_jPKlN6thrust23THRUST_200600_302600_NS17counting_iteratorIlNSB_11use_defaultESD_SD_EEPNS0_10empty_typeENS0_5tupleIJPlSF_EEENSH_IJSI_SG_EEENS0_18inequality_wrapperIN6hipcub16HIPCUB_304000_NS8EqualityEEESI_JSF_EEE10hipError_tPvRmT3_T4_T5_T6_T7_T9_mT8_P12ihipStream_tbDpT10_ENKUlT_T0_E_clISt17integral_constantIbLb0EES19_EEDaS14_S15_EUlS14_E_NS1_11comp_targetILNS1_3genE9ELNS1_11target_archE1100ELNS1_3gpuE3ELNS1_3repE0EEENS1_30default_config_static_selectorELNS0_4arch9wavefront6targetE1EEEvT1_,@function
_ZN7rocprim17ROCPRIM_400000_NS6detail17trampoline_kernelINS0_14default_configENS1_25partition_config_selectorILNS1_17partition_subalgoE9EllbEEZZNS1_14partition_implILS5_9ELb0ES3_jPKlN6thrust23THRUST_200600_302600_NS17counting_iteratorIlNSB_11use_defaultESD_SD_EEPNS0_10empty_typeENS0_5tupleIJPlSF_EEENSH_IJSI_SG_EEENS0_18inequality_wrapperIN6hipcub16HIPCUB_304000_NS8EqualityEEESI_JSF_EEE10hipError_tPvRmT3_T4_T5_T6_T7_T9_mT8_P12ihipStream_tbDpT10_ENKUlT_T0_E_clISt17integral_constantIbLb0EES19_EEDaS14_S15_EUlS14_E_NS1_11comp_targetILNS1_3genE9ELNS1_11target_archE1100ELNS1_3gpuE3ELNS1_3repE0EEENS1_30default_config_static_selectorELNS0_4arch9wavefront6targetE1EEEvT1_: ; @_ZN7rocprim17ROCPRIM_400000_NS6detail17trampoline_kernelINS0_14default_configENS1_25partition_config_selectorILNS1_17partition_subalgoE9EllbEEZZNS1_14partition_implILS5_9ELb0ES3_jPKlN6thrust23THRUST_200600_302600_NS17counting_iteratorIlNSB_11use_defaultESD_SD_EEPNS0_10empty_typeENS0_5tupleIJPlSF_EEENSH_IJSI_SG_EEENS0_18inequality_wrapperIN6hipcub16HIPCUB_304000_NS8EqualityEEESI_JSF_EEE10hipError_tPvRmT3_T4_T5_T6_T7_T9_mT8_P12ihipStream_tbDpT10_ENKUlT_T0_E_clISt17integral_constantIbLb0EES19_EEDaS14_S15_EUlS14_E_NS1_11comp_targetILNS1_3genE9ELNS1_11target_archE1100ELNS1_3gpuE3ELNS1_3repE0EEENS1_30default_config_static_selectorELNS0_4arch9wavefront6targetE1EEEvT1_
; %bb.0:
	.section	.rodata,"a",@progbits
	.p2align	6, 0x0
	.amdhsa_kernel _ZN7rocprim17ROCPRIM_400000_NS6detail17trampoline_kernelINS0_14default_configENS1_25partition_config_selectorILNS1_17partition_subalgoE9EllbEEZZNS1_14partition_implILS5_9ELb0ES3_jPKlN6thrust23THRUST_200600_302600_NS17counting_iteratorIlNSB_11use_defaultESD_SD_EEPNS0_10empty_typeENS0_5tupleIJPlSF_EEENSH_IJSI_SG_EEENS0_18inequality_wrapperIN6hipcub16HIPCUB_304000_NS8EqualityEEESI_JSF_EEE10hipError_tPvRmT3_T4_T5_T6_T7_T9_mT8_P12ihipStream_tbDpT10_ENKUlT_T0_E_clISt17integral_constantIbLb0EES19_EEDaS14_S15_EUlS14_E_NS1_11comp_targetILNS1_3genE9ELNS1_11target_archE1100ELNS1_3gpuE3ELNS1_3repE0EEENS1_30default_config_static_selectorELNS0_4arch9wavefront6targetE1EEEvT1_
		.amdhsa_group_segment_fixed_size 0
		.amdhsa_private_segment_fixed_size 0
		.amdhsa_kernarg_size 112
		.amdhsa_user_sgpr_count 6
		.amdhsa_user_sgpr_private_segment_buffer 1
		.amdhsa_user_sgpr_dispatch_ptr 0
		.amdhsa_user_sgpr_queue_ptr 0
		.amdhsa_user_sgpr_kernarg_segment_ptr 1
		.amdhsa_user_sgpr_dispatch_id 0
		.amdhsa_user_sgpr_flat_scratch_init 0
		.amdhsa_user_sgpr_kernarg_preload_length 0
		.amdhsa_user_sgpr_kernarg_preload_offset 0
		.amdhsa_user_sgpr_private_segment_size 0
		.amdhsa_uses_dynamic_stack 0
		.amdhsa_system_sgpr_private_segment_wavefront_offset 0
		.amdhsa_system_sgpr_workgroup_id_x 1
		.amdhsa_system_sgpr_workgroup_id_y 0
		.amdhsa_system_sgpr_workgroup_id_z 0
		.amdhsa_system_sgpr_workgroup_info 0
		.amdhsa_system_vgpr_workitem_id 0
		.amdhsa_next_free_vgpr 1
		.amdhsa_next_free_sgpr 0
		.amdhsa_accum_offset 4
		.amdhsa_reserve_vcc 0
		.amdhsa_reserve_flat_scratch 0
		.amdhsa_float_round_mode_32 0
		.amdhsa_float_round_mode_16_64 0
		.amdhsa_float_denorm_mode_32 3
		.amdhsa_float_denorm_mode_16_64 3
		.amdhsa_dx10_clamp 1
		.amdhsa_ieee_mode 1
		.amdhsa_fp16_overflow 0
		.amdhsa_tg_split 0
		.amdhsa_exception_fp_ieee_invalid_op 0
		.amdhsa_exception_fp_denorm_src 0
		.amdhsa_exception_fp_ieee_div_zero 0
		.amdhsa_exception_fp_ieee_overflow 0
		.amdhsa_exception_fp_ieee_underflow 0
		.amdhsa_exception_fp_ieee_inexact 0
		.amdhsa_exception_int_div_zero 0
	.end_amdhsa_kernel
	.section	.text._ZN7rocprim17ROCPRIM_400000_NS6detail17trampoline_kernelINS0_14default_configENS1_25partition_config_selectorILNS1_17partition_subalgoE9EllbEEZZNS1_14partition_implILS5_9ELb0ES3_jPKlN6thrust23THRUST_200600_302600_NS17counting_iteratorIlNSB_11use_defaultESD_SD_EEPNS0_10empty_typeENS0_5tupleIJPlSF_EEENSH_IJSI_SG_EEENS0_18inequality_wrapperIN6hipcub16HIPCUB_304000_NS8EqualityEEESI_JSF_EEE10hipError_tPvRmT3_T4_T5_T6_T7_T9_mT8_P12ihipStream_tbDpT10_ENKUlT_T0_E_clISt17integral_constantIbLb0EES19_EEDaS14_S15_EUlS14_E_NS1_11comp_targetILNS1_3genE9ELNS1_11target_archE1100ELNS1_3gpuE3ELNS1_3repE0EEENS1_30default_config_static_selectorELNS0_4arch9wavefront6targetE1EEEvT1_,"axG",@progbits,_ZN7rocprim17ROCPRIM_400000_NS6detail17trampoline_kernelINS0_14default_configENS1_25partition_config_selectorILNS1_17partition_subalgoE9EllbEEZZNS1_14partition_implILS5_9ELb0ES3_jPKlN6thrust23THRUST_200600_302600_NS17counting_iteratorIlNSB_11use_defaultESD_SD_EEPNS0_10empty_typeENS0_5tupleIJPlSF_EEENSH_IJSI_SG_EEENS0_18inequality_wrapperIN6hipcub16HIPCUB_304000_NS8EqualityEEESI_JSF_EEE10hipError_tPvRmT3_T4_T5_T6_T7_T9_mT8_P12ihipStream_tbDpT10_ENKUlT_T0_E_clISt17integral_constantIbLb0EES19_EEDaS14_S15_EUlS14_E_NS1_11comp_targetILNS1_3genE9ELNS1_11target_archE1100ELNS1_3gpuE3ELNS1_3repE0EEENS1_30default_config_static_selectorELNS0_4arch9wavefront6targetE1EEEvT1_,comdat
.Lfunc_end50:
	.size	_ZN7rocprim17ROCPRIM_400000_NS6detail17trampoline_kernelINS0_14default_configENS1_25partition_config_selectorILNS1_17partition_subalgoE9EllbEEZZNS1_14partition_implILS5_9ELb0ES3_jPKlN6thrust23THRUST_200600_302600_NS17counting_iteratorIlNSB_11use_defaultESD_SD_EEPNS0_10empty_typeENS0_5tupleIJPlSF_EEENSH_IJSI_SG_EEENS0_18inequality_wrapperIN6hipcub16HIPCUB_304000_NS8EqualityEEESI_JSF_EEE10hipError_tPvRmT3_T4_T5_T6_T7_T9_mT8_P12ihipStream_tbDpT10_ENKUlT_T0_E_clISt17integral_constantIbLb0EES19_EEDaS14_S15_EUlS14_E_NS1_11comp_targetILNS1_3genE9ELNS1_11target_archE1100ELNS1_3gpuE3ELNS1_3repE0EEENS1_30default_config_static_selectorELNS0_4arch9wavefront6targetE1EEEvT1_, .Lfunc_end50-_ZN7rocprim17ROCPRIM_400000_NS6detail17trampoline_kernelINS0_14default_configENS1_25partition_config_selectorILNS1_17partition_subalgoE9EllbEEZZNS1_14partition_implILS5_9ELb0ES3_jPKlN6thrust23THRUST_200600_302600_NS17counting_iteratorIlNSB_11use_defaultESD_SD_EEPNS0_10empty_typeENS0_5tupleIJPlSF_EEENSH_IJSI_SG_EEENS0_18inequality_wrapperIN6hipcub16HIPCUB_304000_NS8EqualityEEESI_JSF_EEE10hipError_tPvRmT3_T4_T5_T6_T7_T9_mT8_P12ihipStream_tbDpT10_ENKUlT_T0_E_clISt17integral_constantIbLb0EES19_EEDaS14_S15_EUlS14_E_NS1_11comp_targetILNS1_3genE9ELNS1_11target_archE1100ELNS1_3gpuE3ELNS1_3repE0EEENS1_30default_config_static_selectorELNS0_4arch9wavefront6targetE1EEEvT1_
                                        ; -- End function
	.section	.AMDGPU.csdata,"",@progbits
; Kernel info:
; codeLenInByte = 0
; NumSgprs: 4
; NumVgprs: 0
; NumAgprs: 0
; TotalNumVgprs: 0
; ScratchSize: 0
; MemoryBound: 0
; FloatMode: 240
; IeeeMode: 1
; LDSByteSize: 0 bytes/workgroup (compile time only)
; SGPRBlocks: 0
; VGPRBlocks: 0
; NumSGPRsForWavesPerEU: 4
; NumVGPRsForWavesPerEU: 1
; AccumOffset: 4
; Occupancy: 8
; WaveLimiterHint : 0
; COMPUTE_PGM_RSRC2:SCRATCH_EN: 0
; COMPUTE_PGM_RSRC2:USER_SGPR: 6
; COMPUTE_PGM_RSRC2:TRAP_HANDLER: 0
; COMPUTE_PGM_RSRC2:TGID_X_EN: 1
; COMPUTE_PGM_RSRC2:TGID_Y_EN: 0
; COMPUTE_PGM_RSRC2:TGID_Z_EN: 0
; COMPUTE_PGM_RSRC2:TIDIG_COMP_CNT: 0
; COMPUTE_PGM_RSRC3_GFX90A:ACCUM_OFFSET: 0
; COMPUTE_PGM_RSRC3_GFX90A:TG_SPLIT: 0
	.section	.text._ZN7rocprim17ROCPRIM_400000_NS6detail17trampoline_kernelINS0_14default_configENS1_25partition_config_selectorILNS1_17partition_subalgoE9EllbEEZZNS1_14partition_implILS5_9ELb0ES3_jPKlN6thrust23THRUST_200600_302600_NS17counting_iteratorIlNSB_11use_defaultESD_SD_EEPNS0_10empty_typeENS0_5tupleIJPlSF_EEENSH_IJSI_SG_EEENS0_18inequality_wrapperIN6hipcub16HIPCUB_304000_NS8EqualityEEESI_JSF_EEE10hipError_tPvRmT3_T4_T5_T6_T7_T9_mT8_P12ihipStream_tbDpT10_ENKUlT_T0_E_clISt17integral_constantIbLb0EES19_EEDaS14_S15_EUlS14_E_NS1_11comp_targetILNS1_3genE8ELNS1_11target_archE1030ELNS1_3gpuE2ELNS1_3repE0EEENS1_30default_config_static_selectorELNS0_4arch9wavefront6targetE1EEEvT1_,"axG",@progbits,_ZN7rocprim17ROCPRIM_400000_NS6detail17trampoline_kernelINS0_14default_configENS1_25partition_config_selectorILNS1_17partition_subalgoE9EllbEEZZNS1_14partition_implILS5_9ELb0ES3_jPKlN6thrust23THRUST_200600_302600_NS17counting_iteratorIlNSB_11use_defaultESD_SD_EEPNS0_10empty_typeENS0_5tupleIJPlSF_EEENSH_IJSI_SG_EEENS0_18inequality_wrapperIN6hipcub16HIPCUB_304000_NS8EqualityEEESI_JSF_EEE10hipError_tPvRmT3_T4_T5_T6_T7_T9_mT8_P12ihipStream_tbDpT10_ENKUlT_T0_E_clISt17integral_constantIbLb0EES19_EEDaS14_S15_EUlS14_E_NS1_11comp_targetILNS1_3genE8ELNS1_11target_archE1030ELNS1_3gpuE2ELNS1_3repE0EEENS1_30default_config_static_selectorELNS0_4arch9wavefront6targetE1EEEvT1_,comdat
	.protected	_ZN7rocprim17ROCPRIM_400000_NS6detail17trampoline_kernelINS0_14default_configENS1_25partition_config_selectorILNS1_17partition_subalgoE9EllbEEZZNS1_14partition_implILS5_9ELb0ES3_jPKlN6thrust23THRUST_200600_302600_NS17counting_iteratorIlNSB_11use_defaultESD_SD_EEPNS0_10empty_typeENS0_5tupleIJPlSF_EEENSH_IJSI_SG_EEENS0_18inequality_wrapperIN6hipcub16HIPCUB_304000_NS8EqualityEEESI_JSF_EEE10hipError_tPvRmT3_T4_T5_T6_T7_T9_mT8_P12ihipStream_tbDpT10_ENKUlT_T0_E_clISt17integral_constantIbLb0EES19_EEDaS14_S15_EUlS14_E_NS1_11comp_targetILNS1_3genE8ELNS1_11target_archE1030ELNS1_3gpuE2ELNS1_3repE0EEENS1_30default_config_static_selectorELNS0_4arch9wavefront6targetE1EEEvT1_ ; -- Begin function _ZN7rocprim17ROCPRIM_400000_NS6detail17trampoline_kernelINS0_14default_configENS1_25partition_config_selectorILNS1_17partition_subalgoE9EllbEEZZNS1_14partition_implILS5_9ELb0ES3_jPKlN6thrust23THRUST_200600_302600_NS17counting_iteratorIlNSB_11use_defaultESD_SD_EEPNS0_10empty_typeENS0_5tupleIJPlSF_EEENSH_IJSI_SG_EEENS0_18inequality_wrapperIN6hipcub16HIPCUB_304000_NS8EqualityEEESI_JSF_EEE10hipError_tPvRmT3_T4_T5_T6_T7_T9_mT8_P12ihipStream_tbDpT10_ENKUlT_T0_E_clISt17integral_constantIbLb0EES19_EEDaS14_S15_EUlS14_E_NS1_11comp_targetILNS1_3genE8ELNS1_11target_archE1030ELNS1_3gpuE2ELNS1_3repE0EEENS1_30default_config_static_selectorELNS0_4arch9wavefront6targetE1EEEvT1_
	.globl	_ZN7rocprim17ROCPRIM_400000_NS6detail17trampoline_kernelINS0_14default_configENS1_25partition_config_selectorILNS1_17partition_subalgoE9EllbEEZZNS1_14partition_implILS5_9ELb0ES3_jPKlN6thrust23THRUST_200600_302600_NS17counting_iteratorIlNSB_11use_defaultESD_SD_EEPNS0_10empty_typeENS0_5tupleIJPlSF_EEENSH_IJSI_SG_EEENS0_18inequality_wrapperIN6hipcub16HIPCUB_304000_NS8EqualityEEESI_JSF_EEE10hipError_tPvRmT3_T4_T5_T6_T7_T9_mT8_P12ihipStream_tbDpT10_ENKUlT_T0_E_clISt17integral_constantIbLb0EES19_EEDaS14_S15_EUlS14_E_NS1_11comp_targetILNS1_3genE8ELNS1_11target_archE1030ELNS1_3gpuE2ELNS1_3repE0EEENS1_30default_config_static_selectorELNS0_4arch9wavefront6targetE1EEEvT1_
	.p2align	8
	.type	_ZN7rocprim17ROCPRIM_400000_NS6detail17trampoline_kernelINS0_14default_configENS1_25partition_config_selectorILNS1_17partition_subalgoE9EllbEEZZNS1_14partition_implILS5_9ELb0ES3_jPKlN6thrust23THRUST_200600_302600_NS17counting_iteratorIlNSB_11use_defaultESD_SD_EEPNS0_10empty_typeENS0_5tupleIJPlSF_EEENSH_IJSI_SG_EEENS0_18inequality_wrapperIN6hipcub16HIPCUB_304000_NS8EqualityEEESI_JSF_EEE10hipError_tPvRmT3_T4_T5_T6_T7_T9_mT8_P12ihipStream_tbDpT10_ENKUlT_T0_E_clISt17integral_constantIbLb0EES19_EEDaS14_S15_EUlS14_E_NS1_11comp_targetILNS1_3genE8ELNS1_11target_archE1030ELNS1_3gpuE2ELNS1_3repE0EEENS1_30default_config_static_selectorELNS0_4arch9wavefront6targetE1EEEvT1_,@function
_ZN7rocprim17ROCPRIM_400000_NS6detail17trampoline_kernelINS0_14default_configENS1_25partition_config_selectorILNS1_17partition_subalgoE9EllbEEZZNS1_14partition_implILS5_9ELb0ES3_jPKlN6thrust23THRUST_200600_302600_NS17counting_iteratorIlNSB_11use_defaultESD_SD_EEPNS0_10empty_typeENS0_5tupleIJPlSF_EEENSH_IJSI_SG_EEENS0_18inequality_wrapperIN6hipcub16HIPCUB_304000_NS8EqualityEEESI_JSF_EEE10hipError_tPvRmT3_T4_T5_T6_T7_T9_mT8_P12ihipStream_tbDpT10_ENKUlT_T0_E_clISt17integral_constantIbLb0EES19_EEDaS14_S15_EUlS14_E_NS1_11comp_targetILNS1_3genE8ELNS1_11target_archE1030ELNS1_3gpuE2ELNS1_3repE0EEENS1_30default_config_static_selectorELNS0_4arch9wavefront6targetE1EEEvT1_: ; @_ZN7rocprim17ROCPRIM_400000_NS6detail17trampoline_kernelINS0_14default_configENS1_25partition_config_selectorILNS1_17partition_subalgoE9EllbEEZZNS1_14partition_implILS5_9ELb0ES3_jPKlN6thrust23THRUST_200600_302600_NS17counting_iteratorIlNSB_11use_defaultESD_SD_EEPNS0_10empty_typeENS0_5tupleIJPlSF_EEENSH_IJSI_SG_EEENS0_18inequality_wrapperIN6hipcub16HIPCUB_304000_NS8EqualityEEESI_JSF_EEE10hipError_tPvRmT3_T4_T5_T6_T7_T9_mT8_P12ihipStream_tbDpT10_ENKUlT_T0_E_clISt17integral_constantIbLb0EES19_EEDaS14_S15_EUlS14_E_NS1_11comp_targetILNS1_3genE8ELNS1_11target_archE1030ELNS1_3gpuE2ELNS1_3repE0EEENS1_30default_config_static_selectorELNS0_4arch9wavefront6targetE1EEEvT1_
; %bb.0:
	.section	.rodata,"a",@progbits
	.p2align	6, 0x0
	.amdhsa_kernel _ZN7rocprim17ROCPRIM_400000_NS6detail17trampoline_kernelINS0_14default_configENS1_25partition_config_selectorILNS1_17partition_subalgoE9EllbEEZZNS1_14partition_implILS5_9ELb0ES3_jPKlN6thrust23THRUST_200600_302600_NS17counting_iteratorIlNSB_11use_defaultESD_SD_EEPNS0_10empty_typeENS0_5tupleIJPlSF_EEENSH_IJSI_SG_EEENS0_18inequality_wrapperIN6hipcub16HIPCUB_304000_NS8EqualityEEESI_JSF_EEE10hipError_tPvRmT3_T4_T5_T6_T7_T9_mT8_P12ihipStream_tbDpT10_ENKUlT_T0_E_clISt17integral_constantIbLb0EES19_EEDaS14_S15_EUlS14_E_NS1_11comp_targetILNS1_3genE8ELNS1_11target_archE1030ELNS1_3gpuE2ELNS1_3repE0EEENS1_30default_config_static_selectorELNS0_4arch9wavefront6targetE1EEEvT1_
		.amdhsa_group_segment_fixed_size 0
		.amdhsa_private_segment_fixed_size 0
		.amdhsa_kernarg_size 112
		.amdhsa_user_sgpr_count 6
		.amdhsa_user_sgpr_private_segment_buffer 1
		.amdhsa_user_sgpr_dispatch_ptr 0
		.amdhsa_user_sgpr_queue_ptr 0
		.amdhsa_user_sgpr_kernarg_segment_ptr 1
		.amdhsa_user_sgpr_dispatch_id 0
		.amdhsa_user_sgpr_flat_scratch_init 0
		.amdhsa_user_sgpr_kernarg_preload_length 0
		.amdhsa_user_sgpr_kernarg_preload_offset 0
		.amdhsa_user_sgpr_private_segment_size 0
		.amdhsa_uses_dynamic_stack 0
		.amdhsa_system_sgpr_private_segment_wavefront_offset 0
		.amdhsa_system_sgpr_workgroup_id_x 1
		.amdhsa_system_sgpr_workgroup_id_y 0
		.amdhsa_system_sgpr_workgroup_id_z 0
		.amdhsa_system_sgpr_workgroup_info 0
		.amdhsa_system_vgpr_workitem_id 0
		.amdhsa_next_free_vgpr 1
		.amdhsa_next_free_sgpr 0
		.amdhsa_accum_offset 4
		.amdhsa_reserve_vcc 0
		.amdhsa_reserve_flat_scratch 0
		.amdhsa_float_round_mode_32 0
		.amdhsa_float_round_mode_16_64 0
		.amdhsa_float_denorm_mode_32 3
		.amdhsa_float_denorm_mode_16_64 3
		.amdhsa_dx10_clamp 1
		.amdhsa_ieee_mode 1
		.amdhsa_fp16_overflow 0
		.amdhsa_tg_split 0
		.amdhsa_exception_fp_ieee_invalid_op 0
		.amdhsa_exception_fp_denorm_src 0
		.amdhsa_exception_fp_ieee_div_zero 0
		.amdhsa_exception_fp_ieee_overflow 0
		.amdhsa_exception_fp_ieee_underflow 0
		.amdhsa_exception_fp_ieee_inexact 0
		.amdhsa_exception_int_div_zero 0
	.end_amdhsa_kernel
	.section	.text._ZN7rocprim17ROCPRIM_400000_NS6detail17trampoline_kernelINS0_14default_configENS1_25partition_config_selectorILNS1_17partition_subalgoE9EllbEEZZNS1_14partition_implILS5_9ELb0ES3_jPKlN6thrust23THRUST_200600_302600_NS17counting_iteratorIlNSB_11use_defaultESD_SD_EEPNS0_10empty_typeENS0_5tupleIJPlSF_EEENSH_IJSI_SG_EEENS0_18inequality_wrapperIN6hipcub16HIPCUB_304000_NS8EqualityEEESI_JSF_EEE10hipError_tPvRmT3_T4_T5_T6_T7_T9_mT8_P12ihipStream_tbDpT10_ENKUlT_T0_E_clISt17integral_constantIbLb0EES19_EEDaS14_S15_EUlS14_E_NS1_11comp_targetILNS1_3genE8ELNS1_11target_archE1030ELNS1_3gpuE2ELNS1_3repE0EEENS1_30default_config_static_selectorELNS0_4arch9wavefront6targetE1EEEvT1_,"axG",@progbits,_ZN7rocprim17ROCPRIM_400000_NS6detail17trampoline_kernelINS0_14default_configENS1_25partition_config_selectorILNS1_17partition_subalgoE9EllbEEZZNS1_14partition_implILS5_9ELb0ES3_jPKlN6thrust23THRUST_200600_302600_NS17counting_iteratorIlNSB_11use_defaultESD_SD_EEPNS0_10empty_typeENS0_5tupleIJPlSF_EEENSH_IJSI_SG_EEENS0_18inequality_wrapperIN6hipcub16HIPCUB_304000_NS8EqualityEEESI_JSF_EEE10hipError_tPvRmT3_T4_T5_T6_T7_T9_mT8_P12ihipStream_tbDpT10_ENKUlT_T0_E_clISt17integral_constantIbLb0EES19_EEDaS14_S15_EUlS14_E_NS1_11comp_targetILNS1_3genE8ELNS1_11target_archE1030ELNS1_3gpuE2ELNS1_3repE0EEENS1_30default_config_static_selectorELNS0_4arch9wavefront6targetE1EEEvT1_,comdat
.Lfunc_end51:
	.size	_ZN7rocprim17ROCPRIM_400000_NS6detail17trampoline_kernelINS0_14default_configENS1_25partition_config_selectorILNS1_17partition_subalgoE9EllbEEZZNS1_14partition_implILS5_9ELb0ES3_jPKlN6thrust23THRUST_200600_302600_NS17counting_iteratorIlNSB_11use_defaultESD_SD_EEPNS0_10empty_typeENS0_5tupleIJPlSF_EEENSH_IJSI_SG_EEENS0_18inequality_wrapperIN6hipcub16HIPCUB_304000_NS8EqualityEEESI_JSF_EEE10hipError_tPvRmT3_T4_T5_T6_T7_T9_mT8_P12ihipStream_tbDpT10_ENKUlT_T0_E_clISt17integral_constantIbLb0EES19_EEDaS14_S15_EUlS14_E_NS1_11comp_targetILNS1_3genE8ELNS1_11target_archE1030ELNS1_3gpuE2ELNS1_3repE0EEENS1_30default_config_static_selectorELNS0_4arch9wavefront6targetE1EEEvT1_, .Lfunc_end51-_ZN7rocprim17ROCPRIM_400000_NS6detail17trampoline_kernelINS0_14default_configENS1_25partition_config_selectorILNS1_17partition_subalgoE9EllbEEZZNS1_14partition_implILS5_9ELb0ES3_jPKlN6thrust23THRUST_200600_302600_NS17counting_iteratorIlNSB_11use_defaultESD_SD_EEPNS0_10empty_typeENS0_5tupleIJPlSF_EEENSH_IJSI_SG_EEENS0_18inequality_wrapperIN6hipcub16HIPCUB_304000_NS8EqualityEEESI_JSF_EEE10hipError_tPvRmT3_T4_T5_T6_T7_T9_mT8_P12ihipStream_tbDpT10_ENKUlT_T0_E_clISt17integral_constantIbLb0EES19_EEDaS14_S15_EUlS14_E_NS1_11comp_targetILNS1_3genE8ELNS1_11target_archE1030ELNS1_3gpuE2ELNS1_3repE0EEENS1_30default_config_static_selectorELNS0_4arch9wavefront6targetE1EEEvT1_
                                        ; -- End function
	.section	.AMDGPU.csdata,"",@progbits
; Kernel info:
; codeLenInByte = 0
; NumSgprs: 4
; NumVgprs: 0
; NumAgprs: 0
; TotalNumVgprs: 0
; ScratchSize: 0
; MemoryBound: 0
; FloatMode: 240
; IeeeMode: 1
; LDSByteSize: 0 bytes/workgroup (compile time only)
; SGPRBlocks: 0
; VGPRBlocks: 0
; NumSGPRsForWavesPerEU: 4
; NumVGPRsForWavesPerEU: 1
; AccumOffset: 4
; Occupancy: 8
; WaveLimiterHint : 0
; COMPUTE_PGM_RSRC2:SCRATCH_EN: 0
; COMPUTE_PGM_RSRC2:USER_SGPR: 6
; COMPUTE_PGM_RSRC2:TRAP_HANDLER: 0
; COMPUTE_PGM_RSRC2:TGID_X_EN: 1
; COMPUTE_PGM_RSRC2:TGID_Y_EN: 0
; COMPUTE_PGM_RSRC2:TGID_Z_EN: 0
; COMPUTE_PGM_RSRC2:TIDIG_COMP_CNT: 0
; COMPUTE_PGM_RSRC3_GFX90A:ACCUM_OFFSET: 0
; COMPUTE_PGM_RSRC3_GFX90A:TG_SPLIT: 0
	.section	.text._ZN7rocprim17ROCPRIM_400000_NS6detail17trampoline_kernelINS0_14default_configENS1_25partition_config_selectorILNS1_17partition_subalgoE9EllbEEZZNS1_14partition_implILS5_9ELb0ES3_jPKlN6thrust23THRUST_200600_302600_NS17counting_iteratorIlNSB_11use_defaultESD_SD_EEPNS0_10empty_typeENS0_5tupleIJPlSF_EEENSH_IJSI_SG_EEENS0_18inequality_wrapperIN6hipcub16HIPCUB_304000_NS8EqualityEEESI_JSF_EEE10hipError_tPvRmT3_T4_T5_T6_T7_T9_mT8_P12ihipStream_tbDpT10_ENKUlT_T0_E_clISt17integral_constantIbLb1EES19_EEDaS14_S15_EUlS14_E_NS1_11comp_targetILNS1_3genE0ELNS1_11target_archE4294967295ELNS1_3gpuE0ELNS1_3repE0EEENS1_30default_config_static_selectorELNS0_4arch9wavefront6targetE1EEEvT1_,"axG",@progbits,_ZN7rocprim17ROCPRIM_400000_NS6detail17trampoline_kernelINS0_14default_configENS1_25partition_config_selectorILNS1_17partition_subalgoE9EllbEEZZNS1_14partition_implILS5_9ELb0ES3_jPKlN6thrust23THRUST_200600_302600_NS17counting_iteratorIlNSB_11use_defaultESD_SD_EEPNS0_10empty_typeENS0_5tupleIJPlSF_EEENSH_IJSI_SG_EEENS0_18inequality_wrapperIN6hipcub16HIPCUB_304000_NS8EqualityEEESI_JSF_EEE10hipError_tPvRmT3_T4_T5_T6_T7_T9_mT8_P12ihipStream_tbDpT10_ENKUlT_T0_E_clISt17integral_constantIbLb1EES19_EEDaS14_S15_EUlS14_E_NS1_11comp_targetILNS1_3genE0ELNS1_11target_archE4294967295ELNS1_3gpuE0ELNS1_3repE0EEENS1_30default_config_static_selectorELNS0_4arch9wavefront6targetE1EEEvT1_,comdat
	.protected	_ZN7rocprim17ROCPRIM_400000_NS6detail17trampoline_kernelINS0_14default_configENS1_25partition_config_selectorILNS1_17partition_subalgoE9EllbEEZZNS1_14partition_implILS5_9ELb0ES3_jPKlN6thrust23THRUST_200600_302600_NS17counting_iteratorIlNSB_11use_defaultESD_SD_EEPNS0_10empty_typeENS0_5tupleIJPlSF_EEENSH_IJSI_SG_EEENS0_18inequality_wrapperIN6hipcub16HIPCUB_304000_NS8EqualityEEESI_JSF_EEE10hipError_tPvRmT3_T4_T5_T6_T7_T9_mT8_P12ihipStream_tbDpT10_ENKUlT_T0_E_clISt17integral_constantIbLb1EES19_EEDaS14_S15_EUlS14_E_NS1_11comp_targetILNS1_3genE0ELNS1_11target_archE4294967295ELNS1_3gpuE0ELNS1_3repE0EEENS1_30default_config_static_selectorELNS0_4arch9wavefront6targetE1EEEvT1_ ; -- Begin function _ZN7rocprim17ROCPRIM_400000_NS6detail17trampoline_kernelINS0_14default_configENS1_25partition_config_selectorILNS1_17partition_subalgoE9EllbEEZZNS1_14partition_implILS5_9ELb0ES3_jPKlN6thrust23THRUST_200600_302600_NS17counting_iteratorIlNSB_11use_defaultESD_SD_EEPNS0_10empty_typeENS0_5tupleIJPlSF_EEENSH_IJSI_SG_EEENS0_18inequality_wrapperIN6hipcub16HIPCUB_304000_NS8EqualityEEESI_JSF_EEE10hipError_tPvRmT3_T4_T5_T6_T7_T9_mT8_P12ihipStream_tbDpT10_ENKUlT_T0_E_clISt17integral_constantIbLb1EES19_EEDaS14_S15_EUlS14_E_NS1_11comp_targetILNS1_3genE0ELNS1_11target_archE4294967295ELNS1_3gpuE0ELNS1_3repE0EEENS1_30default_config_static_selectorELNS0_4arch9wavefront6targetE1EEEvT1_
	.globl	_ZN7rocprim17ROCPRIM_400000_NS6detail17trampoline_kernelINS0_14default_configENS1_25partition_config_selectorILNS1_17partition_subalgoE9EllbEEZZNS1_14partition_implILS5_9ELb0ES3_jPKlN6thrust23THRUST_200600_302600_NS17counting_iteratorIlNSB_11use_defaultESD_SD_EEPNS0_10empty_typeENS0_5tupleIJPlSF_EEENSH_IJSI_SG_EEENS0_18inequality_wrapperIN6hipcub16HIPCUB_304000_NS8EqualityEEESI_JSF_EEE10hipError_tPvRmT3_T4_T5_T6_T7_T9_mT8_P12ihipStream_tbDpT10_ENKUlT_T0_E_clISt17integral_constantIbLb1EES19_EEDaS14_S15_EUlS14_E_NS1_11comp_targetILNS1_3genE0ELNS1_11target_archE4294967295ELNS1_3gpuE0ELNS1_3repE0EEENS1_30default_config_static_selectorELNS0_4arch9wavefront6targetE1EEEvT1_
	.p2align	8
	.type	_ZN7rocprim17ROCPRIM_400000_NS6detail17trampoline_kernelINS0_14default_configENS1_25partition_config_selectorILNS1_17partition_subalgoE9EllbEEZZNS1_14partition_implILS5_9ELb0ES3_jPKlN6thrust23THRUST_200600_302600_NS17counting_iteratorIlNSB_11use_defaultESD_SD_EEPNS0_10empty_typeENS0_5tupleIJPlSF_EEENSH_IJSI_SG_EEENS0_18inequality_wrapperIN6hipcub16HIPCUB_304000_NS8EqualityEEESI_JSF_EEE10hipError_tPvRmT3_T4_T5_T6_T7_T9_mT8_P12ihipStream_tbDpT10_ENKUlT_T0_E_clISt17integral_constantIbLb1EES19_EEDaS14_S15_EUlS14_E_NS1_11comp_targetILNS1_3genE0ELNS1_11target_archE4294967295ELNS1_3gpuE0ELNS1_3repE0EEENS1_30default_config_static_selectorELNS0_4arch9wavefront6targetE1EEEvT1_,@function
_ZN7rocprim17ROCPRIM_400000_NS6detail17trampoline_kernelINS0_14default_configENS1_25partition_config_selectorILNS1_17partition_subalgoE9EllbEEZZNS1_14partition_implILS5_9ELb0ES3_jPKlN6thrust23THRUST_200600_302600_NS17counting_iteratorIlNSB_11use_defaultESD_SD_EEPNS0_10empty_typeENS0_5tupleIJPlSF_EEENSH_IJSI_SG_EEENS0_18inequality_wrapperIN6hipcub16HIPCUB_304000_NS8EqualityEEESI_JSF_EEE10hipError_tPvRmT3_T4_T5_T6_T7_T9_mT8_P12ihipStream_tbDpT10_ENKUlT_T0_E_clISt17integral_constantIbLb1EES19_EEDaS14_S15_EUlS14_E_NS1_11comp_targetILNS1_3genE0ELNS1_11target_archE4294967295ELNS1_3gpuE0ELNS1_3repE0EEENS1_30default_config_static_selectorELNS0_4arch9wavefront6targetE1EEEvT1_: ; @_ZN7rocprim17ROCPRIM_400000_NS6detail17trampoline_kernelINS0_14default_configENS1_25partition_config_selectorILNS1_17partition_subalgoE9EllbEEZZNS1_14partition_implILS5_9ELb0ES3_jPKlN6thrust23THRUST_200600_302600_NS17counting_iteratorIlNSB_11use_defaultESD_SD_EEPNS0_10empty_typeENS0_5tupleIJPlSF_EEENSH_IJSI_SG_EEENS0_18inequality_wrapperIN6hipcub16HIPCUB_304000_NS8EqualityEEESI_JSF_EEE10hipError_tPvRmT3_T4_T5_T6_T7_T9_mT8_P12ihipStream_tbDpT10_ENKUlT_T0_E_clISt17integral_constantIbLb1EES19_EEDaS14_S15_EUlS14_E_NS1_11comp_targetILNS1_3genE0ELNS1_11target_archE4294967295ELNS1_3gpuE0ELNS1_3repE0EEENS1_30default_config_static_selectorELNS0_4arch9wavefront6targetE1EEEvT1_
; %bb.0:
	.section	.rodata,"a",@progbits
	.p2align	6, 0x0
	.amdhsa_kernel _ZN7rocprim17ROCPRIM_400000_NS6detail17trampoline_kernelINS0_14default_configENS1_25partition_config_selectorILNS1_17partition_subalgoE9EllbEEZZNS1_14partition_implILS5_9ELb0ES3_jPKlN6thrust23THRUST_200600_302600_NS17counting_iteratorIlNSB_11use_defaultESD_SD_EEPNS0_10empty_typeENS0_5tupleIJPlSF_EEENSH_IJSI_SG_EEENS0_18inequality_wrapperIN6hipcub16HIPCUB_304000_NS8EqualityEEESI_JSF_EEE10hipError_tPvRmT3_T4_T5_T6_T7_T9_mT8_P12ihipStream_tbDpT10_ENKUlT_T0_E_clISt17integral_constantIbLb1EES19_EEDaS14_S15_EUlS14_E_NS1_11comp_targetILNS1_3genE0ELNS1_11target_archE4294967295ELNS1_3gpuE0ELNS1_3repE0EEENS1_30default_config_static_selectorELNS0_4arch9wavefront6targetE1EEEvT1_
		.amdhsa_group_segment_fixed_size 0
		.amdhsa_private_segment_fixed_size 0
		.amdhsa_kernarg_size 128
		.amdhsa_user_sgpr_count 6
		.amdhsa_user_sgpr_private_segment_buffer 1
		.amdhsa_user_sgpr_dispatch_ptr 0
		.amdhsa_user_sgpr_queue_ptr 0
		.amdhsa_user_sgpr_kernarg_segment_ptr 1
		.amdhsa_user_sgpr_dispatch_id 0
		.amdhsa_user_sgpr_flat_scratch_init 0
		.amdhsa_user_sgpr_kernarg_preload_length 0
		.amdhsa_user_sgpr_kernarg_preload_offset 0
		.amdhsa_user_sgpr_private_segment_size 0
		.amdhsa_uses_dynamic_stack 0
		.amdhsa_system_sgpr_private_segment_wavefront_offset 0
		.amdhsa_system_sgpr_workgroup_id_x 1
		.amdhsa_system_sgpr_workgroup_id_y 0
		.amdhsa_system_sgpr_workgroup_id_z 0
		.amdhsa_system_sgpr_workgroup_info 0
		.amdhsa_system_vgpr_workitem_id 0
		.amdhsa_next_free_vgpr 1
		.amdhsa_next_free_sgpr 0
		.amdhsa_accum_offset 4
		.amdhsa_reserve_vcc 0
		.amdhsa_reserve_flat_scratch 0
		.amdhsa_float_round_mode_32 0
		.amdhsa_float_round_mode_16_64 0
		.amdhsa_float_denorm_mode_32 3
		.amdhsa_float_denorm_mode_16_64 3
		.amdhsa_dx10_clamp 1
		.amdhsa_ieee_mode 1
		.amdhsa_fp16_overflow 0
		.amdhsa_tg_split 0
		.amdhsa_exception_fp_ieee_invalid_op 0
		.amdhsa_exception_fp_denorm_src 0
		.amdhsa_exception_fp_ieee_div_zero 0
		.amdhsa_exception_fp_ieee_overflow 0
		.amdhsa_exception_fp_ieee_underflow 0
		.amdhsa_exception_fp_ieee_inexact 0
		.amdhsa_exception_int_div_zero 0
	.end_amdhsa_kernel
	.section	.text._ZN7rocprim17ROCPRIM_400000_NS6detail17trampoline_kernelINS0_14default_configENS1_25partition_config_selectorILNS1_17partition_subalgoE9EllbEEZZNS1_14partition_implILS5_9ELb0ES3_jPKlN6thrust23THRUST_200600_302600_NS17counting_iteratorIlNSB_11use_defaultESD_SD_EEPNS0_10empty_typeENS0_5tupleIJPlSF_EEENSH_IJSI_SG_EEENS0_18inequality_wrapperIN6hipcub16HIPCUB_304000_NS8EqualityEEESI_JSF_EEE10hipError_tPvRmT3_T4_T5_T6_T7_T9_mT8_P12ihipStream_tbDpT10_ENKUlT_T0_E_clISt17integral_constantIbLb1EES19_EEDaS14_S15_EUlS14_E_NS1_11comp_targetILNS1_3genE0ELNS1_11target_archE4294967295ELNS1_3gpuE0ELNS1_3repE0EEENS1_30default_config_static_selectorELNS0_4arch9wavefront6targetE1EEEvT1_,"axG",@progbits,_ZN7rocprim17ROCPRIM_400000_NS6detail17trampoline_kernelINS0_14default_configENS1_25partition_config_selectorILNS1_17partition_subalgoE9EllbEEZZNS1_14partition_implILS5_9ELb0ES3_jPKlN6thrust23THRUST_200600_302600_NS17counting_iteratorIlNSB_11use_defaultESD_SD_EEPNS0_10empty_typeENS0_5tupleIJPlSF_EEENSH_IJSI_SG_EEENS0_18inequality_wrapperIN6hipcub16HIPCUB_304000_NS8EqualityEEESI_JSF_EEE10hipError_tPvRmT3_T4_T5_T6_T7_T9_mT8_P12ihipStream_tbDpT10_ENKUlT_T0_E_clISt17integral_constantIbLb1EES19_EEDaS14_S15_EUlS14_E_NS1_11comp_targetILNS1_3genE0ELNS1_11target_archE4294967295ELNS1_3gpuE0ELNS1_3repE0EEENS1_30default_config_static_selectorELNS0_4arch9wavefront6targetE1EEEvT1_,comdat
.Lfunc_end52:
	.size	_ZN7rocprim17ROCPRIM_400000_NS6detail17trampoline_kernelINS0_14default_configENS1_25partition_config_selectorILNS1_17partition_subalgoE9EllbEEZZNS1_14partition_implILS5_9ELb0ES3_jPKlN6thrust23THRUST_200600_302600_NS17counting_iteratorIlNSB_11use_defaultESD_SD_EEPNS0_10empty_typeENS0_5tupleIJPlSF_EEENSH_IJSI_SG_EEENS0_18inequality_wrapperIN6hipcub16HIPCUB_304000_NS8EqualityEEESI_JSF_EEE10hipError_tPvRmT3_T4_T5_T6_T7_T9_mT8_P12ihipStream_tbDpT10_ENKUlT_T0_E_clISt17integral_constantIbLb1EES19_EEDaS14_S15_EUlS14_E_NS1_11comp_targetILNS1_3genE0ELNS1_11target_archE4294967295ELNS1_3gpuE0ELNS1_3repE0EEENS1_30default_config_static_selectorELNS0_4arch9wavefront6targetE1EEEvT1_, .Lfunc_end52-_ZN7rocprim17ROCPRIM_400000_NS6detail17trampoline_kernelINS0_14default_configENS1_25partition_config_selectorILNS1_17partition_subalgoE9EllbEEZZNS1_14partition_implILS5_9ELb0ES3_jPKlN6thrust23THRUST_200600_302600_NS17counting_iteratorIlNSB_11use_defaultESD_SD_EEPNS0_10empty_typeENS0_5tupleIJPlSF_EEENSH_IJSI_SG_EEENS0_18inequality_wrapperIN6hipcub16HIPCUB_304000_NS8EqualityEEESI_JSF_EEE10hipError_tPvRmT3_T4_T5_T6_T7_T9_mT8_P12ihipStream_tbDpT10_ENKUlT_T0_E_clISt17integral_constantIbLb1EES19_EEDaS14_S15_EUlS14_E_NS1_11comp_targetILNS1_3genE0ELNS1_11target_archE4294967295ELNS1_3gpuE0ELNS1_3repE0EEENS1_30default_config_static_selectorELNS0_4arch9wavefront6targetE1EEEvT1_
                                        ; -- End function
	.section	.AMDGPU.csdata,"",@progbits
; Kernel info:
; codeLenInByte = 0
; NumSgprs: 4
; NumVgprs: 0
; NumAgprs: 0
; TotalNumVgprs: 0
; ScratchSize: 0
; MemoryBound: 0
; FloatMode: 240
; IeeeMode: 1
; LDSByteSize: 0 bytes/workgroup (compile time only)
; SGPRBlocks: 0
; VGPRBlocks: 0
; NumSGPRsForWavesPerEU: 4
; NumVGPRsForWavesPerEU: 1
; AccumOffset: 4
; Occupancy: 8
; WaveLimiterHint : 0
; COMPUTE_PGM_RSRC2:SCRATCH_EN: 0
; COMPUTE_PGM_RSRC2:USER_SGPR: 6
; COMPUTE_PGM_RSRC2:TRAP_HANDLER: 0
; COMPUTE_PGM_RSRC2:TGID_X_EN: 1
; COMPUTE_PGM_RSRC2:TGID_Y_EN: 0
; COMPUTE_PGM_RSRC2:TGID_Z_EN: 0
; COMPUTE_PGM_RSRC2:TIDIG_COMP_CNT: 0
; COMPUTE_PGM_RSRC3_GFX90A:ACCUM_OFFSET: 0
; COMPUTE_PGM_RSRC3_GFX90A:TG_SPLIT: 0
	.section	.text._ZN7rocprim17ROCPRIM_400000_NS6detail17trampoline_kernelINS0_14default_configENS1_25partition_config_selectorILNS1_17partition_subalgoE9EllbEEZZNS1_14partition_implILS5_9ELb0ES3_jPKlN6thrust23THRUST_200600_302600_NS17counting_iteratorIlNSB_11use_defaultESD_SD_EEPNS0_10empty_typeENS0_5tupleIJPlSF_EEENSH_IJSI_SG_EEENS0_18inequality_wrapperIN6hipcub16HIPCUB_304000_NS8EqualityEEESI_JSF_EEE10hipError_tPvRmT3_T4_T5_T6_T7_T9_mT8_P12ihipStream_tbDpT10_ENKUlT_T0_E_clISt17integral_constantIbLb1EES19_EEDaS14_S15_EUlS14_E_NS1_11comp_targetILNS1_3genE5ELNS1_11target_archE942ELNS1_3gpuE9ELNS1_3repE0EEENS1_30default_config_static_selectorELNS0_4arch9wavefront6targetE1EEEvT1_,"axG",@progbits,_ZN7rocprim17ROCPRIM_400000_NS6detail17trampoline_kernelINS0_14default_configENS1_25partition_config_selectorILNS1_17partition_subalgoE9EllbEEZZNS1_14partition_implILS5_9ELb0ES3_jPKlN6thrust23THRUST_200600_302600_NS17counting_iteratorIlNSB_11use_defaultESD_SD_EEPNS0_10empty_typeENS0_5tupleIJPlSF_EEENSH_IJSI_SG_EEENS0_18inequality_wrapperIN6hipcub16HIPCUB_304000_NS8EqualityEEESI_JSF_EEE10hipError_tPvRmT3_T4_T5_T6_T7_T9_mT8_P12ihipStream_tbDpT10_ENKUlT_T0_E_clISt17integral_constantIbLb1EES19_EEDaS14_S15_EUlS14_E_NS1_11comp_targetILNS1_3genE5ELNS1_11target_archE942ELNS1_3gpuE9ELNS1_3repE0EEENS1_30default_config_static_selectorELNS0_4arch9wavefront6targetE1EEEvT1_,comdat
	.protected	_ZN7rocprim17ROCPRIM_400000_NS6detail17trampoline_kernelINS0_14default_configENS1_25partition_config_selectorILNS1_17partition_subalgoE9EllbEEZZNS1_14partition_implILS5_9ELb0ES3_jPKlN6thrust23THRUST_200600_302600_NS17counting_iteratorIlNSB_11use_defaultESD_SD_EEPNS0_10empty_typeENS0_5tupleIJPlSF_EEENSH_IJSI_SG_EEENS0_18inequality_wrapperIN6hipcub16HIPCUB_304000_NS8EqualityEEESI_JSF_EEE10hipError_tPvRmT3_T4_T5_T6_T7_T9_mT8_P12ihipStream_tbDpT10_ENKUlT_T0_E_clISt17integral_constantIbLb1EES19_EEDaS14_S15_EUlS14_E_NS1_11comp_targetILNS1_3genE5ELNS1_11target_archE942ELNS1_3gpuE9ELNS1_3repE0EEENS1_30default_config_static_selectorELNS0_4arch9wavefront6targetE1EEEvT1_ ; -- Begin function _ZN7rocprim17ROCPRIM_400000_NS6detail17trampoline_kernelINS0_14default_configENS1_25partition_config_selectorILNS1_17partition_subalgoE9EllbEEZZNS1_14partition_implILS5_9ELb0ES3_jPKlN6thrust23THRUST_200600_302600_NS17counting_iteratorIlNSB_11use_defaultESD_SD_EEPNS0_10empty_typeENS0_5tupleIJPlSF_EEENSH_IJSI_SG_EEENS0_18inequality_wrapperIN6hipcub16HIPCUB_304000_NS8EqualityEEESI_JSF_EEE10hipError_tPvRmT3_T4_T5_T6_T7_T9_mT8_P12ihipStream_tbDpT10_ENKUlT_T0_E_clISt17integral_constantIbLb1EES19_EEDaS14_S15_EUlS14_E_NS1_11comp_targetILNS1_3genE5ELNS1_11target_archE942ELNS1_3gpuE9ELNS1_3repE0EEENS1_30default_config_static_selectorELNS0_4arch9wavefront6targetE1EEEvT1_
	.globl	_ZN7rocprim17ROCPRIM_400000_NS6detail17trampoline_kernelINS0_14default_configENS1_25partition_config_selectorILNS1_17partition_subalgoE9EllbEEZZNS1_14partition_implILS5_9ELb0ES3_jPKlN6thrust23THRUST_200600_302600_NS17counting_iteratorIlNSB_11use_defaultESD_SD_EEPNS0_10empty_typeENS0_5tupleIJPlSF_EEENSH_IJSI_SG_EEENS0_18inequality_wrapperIN6hipcub16HIPCUB_304000_NS8EqualityEEESI_JSF_EEE10hipError_tPvRmT3_T4_T5_T6_T7_T9_mT8_P12ihipStream_tbDpT10_ENKUlT_T0_E_clISt17integral_constantIbLb1EES19_EEDaS14_S15_EUlS14_E_NS1_11comp_targetILNS1_3genE5ELNS1_11target_archE942ELNS1_3gpuE9ELNS1_3repE0EEENS1_30default_config_static_selectorELNS0_4arch9wavefront6targetE1EEEvT1_
	.p2align	8
	.type	_ZN7rocprim17ROCPRIM_400000_NS6detail17trampoline_kernelINS0_14default_configENS1_25partition_config_selectorILNS1_17partition_subalgoE9EllbEEZZNS1_14partition_implILS5_9ELb0ES3_jPKlN6thrust23THRUST_200600_302600_NS17counting_iteratorIlNSB_11use_defaultESD_SD_EEPNS0_10empty_typeENS0_5tupleIJPlSF_EEENSH_IJSI_SG_EEENS0_18inequality_wrapperIN6hipcub16HIPCUB_304000_NS8EqualityEEESI_JSF_EEE10hipError_tPvRmT3_T4_T5_T6_T7_T9_mT8_P12ihipStream_tbDpT10_ENKUlT_T0_E_clISt17integral_constantIbLb1EES19_EEDaS14_S15_EUlS14_E_NS1_11comp_targetILNS1_3genE5ELNS1_11target_archE942ELNS1_3gpuE9ELNS1_3repE0EEENS1_30default_config_static_selectorELNS0_4arch9wavefront6targetE1EEEvT1_,@function
_ZN7rocprim17ROCPRIM_400000_NS6detail17trampoline_kernelINS0_14default_configENS1_25partition_config_selectorILNS1_17partition_subalgoE9EllbEEZZNS1_14partition_implILS5_9ELb0ES3_jPKlN6thrust23THRUST_200600_302600_NS17counting_iteratorIlNSB_11use_defaultESD_SD_EEPNS0_10empty_typeENS0_5tupleIJPlSF_EEENSH_IJSI_SG_EEENS0_18inequality_wrapperIN6hipcub16HIPCUB_304000_NS8EqualityEEESI_JSF_EEE10hipError_tPvRmT3_T4_T5_T6_T7_T9_mT8_P12ihipStream_tbDpT10_ENKUlT_T0_E_clISt17integral_constantIbLb1EES19_EEDaS14_S15_EUlS14_E_NS1_11comp_targetILNS1_3genE5ELNS1_11target_archE942ELNS1_3gpuE9ELNS1_3repE0EEENS1_30default_config_static_selectorELNS0_4arch9wavefront6targetE1EEEvT1_: ; @_ZN7rocprim17ROCPRIM_400000_NS6detail17trampoline_kernelINS0_14default_configENS1_25partition_config_selectorILNS1_17partition_subalgoE9EllbEEZZNS1_14partition_implILS5_9ELb0ES3_jPKlN6thrust23THRUST_200600_302600_NS17counting_iteratorIlNSB_11use_defaultESD_SD_EEPNS0_10empty_typeENS0_5tupleIJPlSF_EEENSH_IJSI_SG_EEENS0_18inequality_wrapperIN6hipcub16HIPCUB_304000_NS8EqualityEEESI_JSF_EEE10hipError_tPvRmT3_T4_T5_T6_T7_T9_mT8_P12ihipStream_tbDpT10_ENKUlT_T0_E_clISt17integral_constantIbLb1EES19_EEDaS14_S15_EUlS14_E_NS1_11comp_targetILNS1_3genE5ELNS1_11target_archE942ELNS1_3gpuE9ELNS1_3repE0EEENS1_30default_config_static_selectorELNS0_4arch9wavefront6targetE1EEEvT1_
; %bb.0:
	.section	.rodata,"a",@progbits
	.p2align	6, 0x0
	.amdhsa_kernel _ZN7rocprim17ROCPRIM_400000_NS6detail17trampoline_kernelINS0_14default_configENS1_25partition_config_selectorILNS1_17partition_subalgoE9EllbEEZZNS1_14partition_implILS5_9ELb0ES3_jPKlN6thrust23THRUST_200600_302600_NS17counting_iteratorIlNSB_11use_defaultESD_SD_EEPNS0_10empty_typeENS0_5tupleIJPlSF_EEENSH_IJSI_SG_EEENS0_18inequality_wrapperIN6hipcub16HIPCUB_304000_NS8EqualityEEESI_JSF_EEE10hipError_tPvRmT3_T4_T5_T6_T7_T9_mT8_P12ihipStream_tbDpT10_ENKUlT_T0_E_clISt17integral_constantIbLb1EES19_EEDaS14_S15_EUlS14_E_NS1_11comp_targetILNS1_3genE5ELNS1_11target_archE942ELNS1_3gpuE9ELNS1_3repE0EEENS1_30default_config_static_selectorELNS0_4arch9wavefront6targetE1EEEvT1_
		.amdhsa_group_segment_fixed_size 0
		.amdhsa_private_segment_fixed_size 0
		.amdhsa_kernarg_size 128
		.amdhsa_user_sgpr_count 6
		.amdhsa_user_sgpr_private_segment_buffer 1
		.amdhsa_user_sgpr_dispatch_ptr 0
		.amdhsa_user_sgpr_queue_ptr 0
		.amdhsa_user_sgpr_kernarg_segment_ptr 1
		.amdhsa_user_sgpr_dispatch_id 0
		.amdhsa_user_sgpr_flat_scratch_init 0
		.amdhsa_user_sgpr_kernarg_preload_length 0
		.amdhsa_user_sgpr_kernarg_preload_offset 0
		.amdhsa_user_sgpr_private_segment_size 0
		.amdhsa_uses_dynamic_stack 0
		.amdhsa_system_sgpr_private_segment_wavefront_offset 0
		.amdhsa_system_sgpr_workgroup_id_x 1
		.amdhsa_system_sgpr_workgroup_id_y 0
		.amdhsa_system_sgpr_workgroup_id_z 0
		.amdhsa_system_sgpr_workgroup_info 0
		.amdhsa_system_vgpr_workitem_id 0
		.amdhsa_next_free_vgpr 1
		.amdhsa_next_free_sgpr 0
		.amdhsa_accum_offset 4
		.amdhsa_reserve_vcc 0
		.amdhsa_reserve_flat_scratch 0
		.amdhsa_float_round_mode_32 0
		.amdhsa_float_round_mode_16_64 0
		.amdhsa_float_denorm_mode_32 3
		.amdhsa_float_denorm_mode_16_64 3
		.amdhsa_dx10_clamp 1
		.amdhsa_ieee_mode 1
		.amdhsa_fp16_overflow 0
		.amdhsa_tg_split 0
		.amdhsa_exception_fp_ieee_invalid_op 0
		.amdhsa_exception_fp_denorm_src 0
		.amdhsa_exception_fp_ieee_div_zero 0
		.amdhsa_exception_fp_ieee_overflow 0
		.amdhsa_exception_fp_ieee_underflow 0
		.amdhsa_exception_fp_ieee_inexact 0
		.amdhsa_exception_int_div_zero 0
	.end_amdhsa_kernel
	.section	.text._ZN7rocprim17ROCPRIM_400000_NS6detail17trampoline_kernelINS0_14default_configENS1_25partition_config_selectorILNS1_17partition_subalgoE9EllbEEZZNS1_14partition_implILS5_9ELb0ES3_jPKlN6thrust23THRUST_200600_302600_NS17counting_iteratorIlNSB_11use_defaultESD_SD_EEPNS0_10empty_typeENS0_5tupleIJPlSF_EEENSH_IJSI_SG_EEENS0_18inequality_wrapperIN6hipcub16HIPCUB_304000_NS8EqualityEEESI_JSF_EEE10hipError_tPvRmT3_T4_T5_T6_T7_T9_mT8_P12ihipStream_tbDpT10_ENKUlT_T0_E_clISt17integral_constantIbLb1EES19_EEDaS14_S15_EUlS14_E_NS1_11comp_targetILNS1_3genE5ELNS1_11target_archE942ELNS1_3gpuE9ELNS1_3repE0EEENS1_30default_config_static_selectorELNS0_4arch9wavefront6targetE1EEEvT1_,"axG",@progbits,_ZN7rocprim17ROCPRIM_400000_NS6detail17trampoline_kernelINS0_14default_configENS1_25partition_config_selectorILNS1_17partition_subalgoE9EllbEEZZNS1_14partition_implILS5_9ELb0ES3_jPKlN6thrust23THRUST_200600_302600_NS17counting_iteratorIlNSB_11use_defaultESD_SD_EEPNS0_10empty_typeENS0_5tupleIJPlSF_EEENSH_IJSI_SG_EEENS0_18inequality_wrapperIN6hipcub16HIPCUB_304000_NS8EqualityEEESI_JSF_EEE10hipError_tPvRmT3_T4_T5_T6_T7_T9_mT8_P12ihipStream_tbDpT10_ENKUlT_T0_E_clISt17integral_constantIbLb1EES19_EEDaS14_S15_EUlS14_E_NS1_11comp_targetILNS1_3genE5ELNS1_11target_archE942ELNS1_3gpuE9ELNS1_3repE0EEENS1_30default_config_static_selectorELNS0_4arch9wavefront6targetE1EEEvT1_,comdat
.Lfunc_end53:
	.size	_ZN7rocprim17ROCPRIM_400000_NS6detail17trampoline_kernelINS0_14default_configENS1_25partition_config_selectorILNS1_17partition_subalgoE9EllbEEZZNS1_14partition_implILS5_9ELb0ES3_jPKlN6thrust23THRUST_200600_302600_NS17counting_iteratorIlNSB_11use_defaultESD_SD_EEPNS0_10empty_typeENS0_5tupleIJPlSF_EEENSH_IJSI_SG_EEENS0_18inequality_wrapperIN6hipcub16HIPCUB_304000_NS8EqualityEEESI_JSF_EEE10hipError_tPvRmT3_T4_T5_T6_T7_T9_mT8_P12ihipStream_tbDpT10_ENKUlT_T0_E_clISt17integral_constantIbLb1EES19_EEDaS14_S15_EUlS14_E_NS1_11comp_targetILNS1_3genE5ELNS1_11target_archE942ELNS1_3gpuE9ELNS1_3repE0EEENS1_30default_config_static_selectorELNS0_4arch9wavefront6targetE1EEEvT1_, .Lfunc_end53-_ZN7rocprim17ROCPRIM_400000_NS6detail17trampoline_kernelINS0_14default_configENS1_25partition_config_selectorILNS1_17partition_subalgoE9EllbEEZZNS1_14partition_implILS5_9ELb0ES3_jPKlN6thrust23THRUST_200600_302600_NS17counting_iteratorIlNSB_11use_defaultESD_SD_EEPNS0_10empty_typeENS0_5tupleIJPlSF_EEENSH_IJSI_SG_EEENS0_18inequality_wrapperIN6hipcub16HIPCUB_304000_NS8EqualityEEESI_JSF_EEE10hipError_tPvRmT3_T4_T5_T6_T7_T9_mT8_P12ihipStream_tbDpT10_ENKUlT_T0_E_clISt17integral_constantIbLb1EES19_EEDaS14_S15_EUlS14_E_NS1_11comp_targetILNS1_3genE5ELNS1_11target_archE942ELNS1_3gpuE9ELNS1_3repE0EEENS1_30default_config_static_selectorELNS0_4arch9wavefront6targetE1EEEvT1_
                                        ; -- End function
	.section	.AMDGPU.csdata,"",@progbits
; Kernel info:
; codeLenInByte = 0
; NumSgprs: 4
; NumVgprs: 0
; NumAgprs: 0
; TotalNumVgprs: 0
; ScratchSize: 0
; MemoryBound: 0
; FloatMode: 240
; IeeeMode: 1
; LDSByteSize: 0 bytes/workgroup (compile time only)
; SGPRBlocks: 0
; VGPRBlocks: 0
; NumSGPRsForWavesPerEU: 4
; NumVGPRsForWavesPerEU: 1
; AccumOffset: 4
; Occupancy: 8
; WaveLimiterHint : 0
; COMPUTE_PGM_RSRC2:SCRATCH_EN: 0
; COMPUTE_PGM_RSRC2:USER_SGPR: 6
; COMPUTE_PGM_RSRC2:TRAP_HANDLER: 0
; COMPUTE_PGM_RSRC2:TGID_X_EN: 1
; COMPUTE_PGM_RSRC2:TGID_Y_EN: 0
; COMPUTE_PGM_RSRC2:TGID_Z_EN: 0
; COMPUTE_PGM_RSRC2:TIDIG_COMP_CNT: 0
; COMPUTE_PGM_RSRC3_GFX90A:ACCUM_OFFSET: 0
; COMPUTE_PGM_RSRC3_GFX90A:TG_SPLIT: 0
	.section	.text._ZN7rocprim17ROCPRIM_400000_NS6detail17trampoline_kernelINS0_14default_configENS1_25partition_config_selectorILNS1_17partition_subalgoE9EllbEEZZNS1_14partition_implILS5_9ELb0ES3_jPKlN6thrust23THRUST_200600_302600_NS17counting_iteratorIlNSB_11use_defaultESD_SD_EEPNS0_10empty_typeENS0_5tupleIJPlSF_EEENSH_IJSI_SG_EEENS0_18inequality_wrapperIN6hipcub16HIPCUB_304000_NS8EqualityEEESI_JSF_EEE10hipError_tPvRmT3_T4_T5_T6_T7_T9_mT8_P12ihipStream_tbDpT10_ENKUlT_T0_E_clISt17integral_constantIbLb1EES19_EEDaS14_S15_EUlS14_E_NS1_11comp_targetILNS1_3genE4ELNS1_11target_archE910ELNS1_3gpuE8ELNS1_3repE0EEENS1_30default_config_static_selectorELNS0_4arch9wavefront6targetE1EEEvT1_,"axG",@progbits,_ZN7rocprim17ROCPRIM_400000_NS6detail17trampoline_kernelINS0_14default_configENS1_25partition_config_selectorILNS1_17partition_subalgoE9EllbEEZZNS1_14partition_implILS5_9ELb0ES3_jPKlN6thrust23THRUST_200600_302600_NS17counting_iteratorIlNSB_11use_defaultESD_SD_EEPNS0_10empty_typeENS0_5tupleIJPlSF_EEENSH_IJSI_SG_EEENS0_18inequality_wrapperIN6hipcub16HIPCUB_304000_NS8EqualityEEESI_JSF_EEE10hipError_tPvRmT3_T4_T5_T6_T7_T9_mT8_P12ihipStream_tbDpT10_ENKUlT_T0_E_clISt17integral_constantIbLb1EES19_EEDaS14_S15_EUlS14_E_NS1_11comp_targetILNS1_3genE4ELNS1_11target_archE910ELNS1_3gpuE8ELNS1_3repE0EEENS1_30default_config_static_selectorELNS0_4arch9wavefront6targetE1EEEvT1_,comdat
	.protected	_ZN7rocprim17ROCPRIM_400000_NS6detail17trampoline_kernelINS0_14default_configENS1_25partition_config_selectorILNS1_17partition_subalgoE9EllbEEZZNS1_14partition_implILS5_9ELb0ES3_jPKlN6thrust23THRUST_200600_302600_NS17counting_iteratorIlNSB_11use_defaultESD_SD_EEPNS0_10empty_typeENS0_5tupleIJPlSF_EEENSH_IJSI_SG_EEENS0_18inequality_wrapperIN6hipcub16HIPCUB_304000_NS8EqualityEEESI_JSF_EEE10hipError_tPvRmT3_T4_T5_T6_T7_T9_mT8_P12ihipStream_tbDpT10_ENKUlT_T0_E_clISt17integral_constantIbLb1EES19_EEDaS14_S15_EUlS14_E_NS1_11comp_targetILNS1_3genE4ELNS1_11target_archE910ELNS1_3gpuE8ELNS1_3repE0EEENS1_30default_config_static_selectorELNS0_4arch9wavefront6targetE1EEEvT1_ ; -- Begin function _ZN7rocprim17ROCPRIM_400000_NS6detail17trampoline_kernelINS0_14default_configENS1_25partition_config_selectorILNS1_17partition_subalgoE9EllbEEZZNS1_14partition_implILS5_9ELb0ES3_jPKlN6thrust23THRUST_200600_302600_NS17counting_iteratorIlNSB_11use_defaultESD_SD_EEPNS0_10empty_typeENS0_5tupleIJPlSF_EEENSH_IJSI_SG_EEENS0_18inequality_wrapperIN6hipcub16HIPCUB_304000_NS8EqualityEEESI_JSF_EEE10hipError_tPvRmT3_T4_T5_T6_T7_T9_mT8_P12ihipStream_tbDpT10_ENKUlT_T0_E_clISt17integral_constantIbLb1EES19_EEDaS14_S15_EUlS14_E_NS1_11comp_targetILNS1_3genE4ELNS1_11target_archE910ELNS1_3gpuE8ELNS1_3repE0EEENS1_30default_config_static_selectorELNS0_4arch9wavefront6targetE1EEEvT1_
	.globl	_ZN7rocprim17ROCPRIM_400000_NS6detail17trampoline_kernelINS0_14default_configENS1_25partition_config_selectorILNS1_17partition_subalgoE9EllbEEZZNS1_14partition_implILS5_9ELb0ES3_jPKlN6thrust23THRUST_200600_302600_NS17counting_iteratorIlNSB_11use_defaultESD_SD_EEPNS0_10empty_typeENS0_5tupleIJPlSF_EEENSH_IJSI_SG_EEENS0_18inequality_wrapperIN6hipcub16HIPCUB_304000_NS8EqualityEEESI_JSF_EEE10hipError_tPvRmT3_T4_T5_T6_T7_T9_mT8_P12ihipStream_tbDpT10_ENKUlT_T0_E_clISt17integral_constantIbLb1EES19_EEDaS14_S15_EUlS14_E_NS1_11comp_targetILNS1_3genE4ELNS1_11target_archE910ELNS1_3gpuE8ELNS1_3repE0EEENS1_30default_config_static_selectorELNS0_4arch9wavefront6targetE1EEEvT1_
	.p2align	8
	.type	_ZN7rocprim17ROCPRIM_400000_NS6detail17trampoline_kernelINS0_14default_configENS1_25partition_config_selectorILNS1_17partition_subalgoE9EllbEEZZNS1_14partition_implILS5_9ELb0ES3_jPKlN6thrust23THRUST_200600_302600_NS17counting_iteratorIlNSB_11use_defaultESD_SD_EEPNS0_10empty_typeENS0_5tupleIJPlSF_EEENSH_IJSI_SG_EEENS0_18inequality_wrapperIN6hipcub16HIPCUB_304000_NS8EqualityEEESI_JSF_EEE10hipError_tPvRmT3_T4_T5_T6_T7_T9_mT8_P12ihipStream_tbDpT10_ENKUlT_T0_E_clISt17integral_constantIbLb1EES19_EEDaS14_S15_EUlS14_E_NS1_11comp_targetILNS1_3genE4ELNS1_11target_archE910ELNS1_3gpuE8ELNS1_3repE0EEENS1_30default_config_static_selectorELNS0_4arch9wavefront6targetE1EEEvT1_,@function
_ZN7rocprim17ROCPRIM_400000_NS6detail17trampoline_kernelINS0_14default_configENS1_25partition_config_selectorILNS1_17partition_subalgoE9EllbEEZZNS1_14partition_implILS5_9ELb0ES3_jPKlN6thrust23THRUST_200600_302600_NS17counting_iteratorIlNSB_11use_defaultESD_SD_EEPNS0_10empty_typeENS0_5tupleIJPlSF_EEENSH_IJSI_SG_EEENS0_18inequality_wrapperIN6hipcub16HIPCUB_304000_NS8EqualityEEESI_JSF_EEE10hipError_tPvRmT3_T4_T5_T6_T7_T9_mT8_P12ihipStream_tbDpT10_ENKUlT_T0_E_clISt17integral_constantIbLb1EES19_EEDaS14_S15_EUlS14_E_NS1_11comp_targetILNS1_3genE4ELNS1_11target_archE910ELNS1_3gpuE8ELNS1_3repE0EEENS1_30default_config_static_selectorELNS0_4arch9wavefront6targetE1EEEvT1_: ; @_ZN7rocprim17ROCPRIM_400000_NS6detail17trampoline_kernelINS0_14default_configENS1_25partition_config_selectorILNS1_17partition_subalgoE9EllbEEZZNS1_14partition_implILS5_9ELb0ES3_jPKlN6thrust23THRUST_200600_302600_NS17counting_iteratorIlNSB_11use_defaultESD_SD_EEPNS0_10empty_typeENS0_5tupleIJPlSF_EEENSH_IJSI_SG_EEENS0_18inequality_wrapperIN6hipcub16HIPCUB_304000_NS8EqualityEEESI_JSF_EEE10hipError_tPvRmT3_T4_T5_T6_T7_T9_mT8_P12ihipStream_tbDpT10_ENKUlT_T0_E_clISt17integral_constantIbLb1EES19_EEDaS14_S15_EUlS14_E_NS1_11comp_targetILNS1_3genE4ELNS1_11target_archE910ELNS1_3gpuE8ELNS1_3repE0EEENS1_30default_config_static_selectorELNS0_4arch9wavefront6targetE1EEEvT1_
; %bb.0:
	s_load_dwordx4 s[8:11], s[4:5], 0x8
	s_load_dwordx2 s[6:7], s[4:5], 0x18
	s_load_dwordx4 s[20:23], s[4:5], 0x40
	s_load_dwordx2 s[16:17], s[4:5], 0x50
	s_load_dwordx2 s[30:31], s[4:5], 0x60
	v_cmp_ne_u32_e64 s[2:3], 0, v0
	v_cmp_eq_u32_e64 s[0:1], 0, v0
	s_and_saveexec_b64 s[12:13], s[0:1]
	s_cbranch_execz .LBB54_4
; %bb.1:
	s_mov_b64 s[18:19], exec
	v_mbcnt_lo_u32_b32 v1, s18, 0
	v_mbcnt_hi_u32_b32 v1, s19, v1
	v_cmp_eq_u32_e32 vcc, 0, v1
                                        ; implicit-def: $vgpr2
	s_and_saveexec_b64 s[14:15], vcc
	s_cbranch_execz .LBB54_3
; %bb.2:
	s_load_dwordx2 s[24:25], s[4:5], 0x70
	s_bcnt1_i32_b64 s18, s[18:19]
	v_mov_b32_e32 v2, 0
	v_mov_b32_e32 v3, s18
	s_waitcnt lgkmcnt(0)
	global_atomic_add v2, v2, v3, s[24:25] glc
.LBB54_3:
	s_or_b64 exec, exec, s[14:15]
	s_waitcnt vmcnt(0)
	v_readfirstlane_b32 s14, v2
	v_add_u32_e32 v1, s14, v1
	v_mov_b32_e32 v2, 0
	ds_write_b32 v2, v1
.LBB54_4:
	s_or_b64 exec, exec, s[12:13]
	v_mov_b32_e32 v19, 0
	s_load_dwordx4 s[24:27], s[4:5], 0x28
	s_load_dword s12, s[4:5], 0x68
	s_waitcnt lgkmcnt(0)
	s_barrier
	ds_read_b32 v6, v19
	s_waitcnt lgkmcnt(0)
	s_barrier
	global_load_dwordx2 v[2:3], v19, s[22:23]
	s_lshl_b64 s[4:5], s[10:11], 3
	v_mov_b32_e32 v5, s17
	s_add_u32 s17, s8, s4
	s_addc_u32 s9, s9, s5
	s_add_i32 s13, s12, -1
	s_lshl_b32 s5, s13, 9
	v_readfirstlane_b32 s33, v6
	s_lshl_b32 s4, s12, 9
	s_add_i32 s8, s10, s5
	s_lshl_b32 s14, s33, 9
	s_add_u32 s4, s10, s4
	s_addc_u32 s5, s11, 0
	v_mov_b32_e32 v4, s16
	s_cmp_eq_u32 s33, s13
	v_cmp_ge_u64_e32 vcc, s[4:5], v[4:5]
	s_cselect_b64 s[22:23], -1, 0
	s_mov_b32 s15, 0
	s_and_b64 s[12:13], vcc, s[22:23]
	s_lshl_b64 s[4:5], s[14:15], 3
	s_xor_b64 s[28:29], s[12:13], -1
	s_add_u32 s4, s17, s4
	s_mov_b64 s[34:35], -1
	v_lshrrev_b32_e32 v1, 2, v0
	s_addc_u32 s5, s9, s5
	s_and_b64 vcc, exec, s[28:29]
	s_waitcnt vmcnt(0)
	v_readfirstlane_b32 s18, v2
	v_readfirstlane_b32 s19, v3
	s_cbranch_vccz .LBB54_6
; %bb.5:
	v_lshlrev_b32_e32 v10, 3, v0
	global_load_dwordx2 v[2:3], v10, s[4:5]
	global_load_dwordx2 v[4:5], v10, s[4:5] offset:1024
	global_load_dwordx2 v[6:7], v10, s[4:5] offset:2048
	;; [unrolled: 1-line block ×3, first 2 shown]
	v_or_b32_e32 v12, 0x80, v0
	v_or_b32_e32 v13, 0x100, v0
	;; [unrolled: 1-line block ×3, first 2 shown]
	v_and_b32_e32 v11, 24, v1
	v_lshrrev_b32_e32 v12, 2, v12
	v_lshrrev_b32_e32 v13, 2, v13
	;; [unrolled: 1-line block ×3, first 2 shown]
	v_add_u32_e32 v11, v11, v10
	v_and_b32_e32 v12, 56, v12
	v_and_b32_e32 v13, 0x58, v13
	;; [unrolled: 1-line block ×3, first 2 shown]
	v_add_u32_e32 v12, v12, v10
	v_add_u32_e32 v13, v13, v10
	;; [unrolled: 1-line block ×3, first 2 shown]
	s_waitcnt vmcnt(3)
	ds_write_b64 v11, v[2:3]
	s_waitcnt vmcnt(2)
	ds_write_b64 v12, v[4:5] offset:1024
	s_waitcnt vmcnt(1)
	ds_write_b64 v13, v[6:7] offset:2048
	;; [unrolled: 2-line block ×3, first 2 shown]
	s_waitcnt lgkmcnt(0)
	s_barrier
	s_sub_i32 s34, s16, s8
	s_cbranch_execz .LBB54_7
	s_branch .LBB54_18
.LBB54_6:
                                        ; implicit-def: $vgpr18_vgpr19
	s_andn2_b64 vcc, exec, s[34:35]
	s_sub_i32 s34, s16, s8
	s_cbranch_vccnz .LBB54_18
.LBB54_7:
	v_cmp_gt_u32_e32 vcc, s34, v0
                                        ; implicit-def: $vgpr2_vgpr3_vgpr4_vgpr5_vgpr6_vgpr7_vgpr8_vgpr9
	s_and_saveexec_b64 s[8:9], vcc
	s_cbranch_execz .LBB54_9
; %bb.8:
	v_lshlrev_b32_e32 v2, 3, v0
	global_load_dwordx2 v[2:3], v2, s[4:5]
.LBB54_9:
	s_or_b64 exec, exec, s[8:9]
	v_or_b32_e32 v10, 0x80, v0
	v_cmp_gt_u32_e32 vcc, s34, v10
	s_and_saveexec_b64 s[8:9], vcc
	s_cbranch_execz .LBB54_11
; %bb.10:
	v_lshlrev_b32_e32 v4, 3, v0
	global_load_dwordx2 v[4:5], v4, s[4:5] offset:1024
.LBB54_11:
	s_or_b64 exec, exec, s[8:9]
	v_or_b32_e32 v11, 0x100, v0
	v_cmp_gt_u32_e32 vcc, s34, v11
	s_and_saveexec_b64 s[8:9], vcc
	s_cbranch_execz .LBB54_13
; %bb.12:
	v_lshlrev_b32_e32 v6, 3, v0
	global_load_dwordx2 v[6:7], v6, s[4:5] offset:2048
.LBB54_13:
	s_or_b64 exec, exec, s[8:9]
	v_or_b32_e32 v12, 0x180, v0
	v_cmp_le_u32_e32 vcc, s34, v12
	s_and_saveexec_b64 s[8:9], vcc
	s_xor_b64 s[8:9], exec, s[8:9]
                                        ; implicit-def: $vgpr18_vgpr19
; %bb.14:
	v_mov_b32_e32 v19, 0
; %bb.15:
	s_andn2_saveexec_b64 s[8:9], s[8:9]
	s_cbranch_execz .LBB54_17
; %bb.16:
	v_lshlrev_b32_e32 v8, 3, v0
	global_load_dwordx2 v[8:9], v8, s[4:5] offset:3072
	v_mov_b32_e32 v19, 0
.LBB54_17:
	s_or_b64 exec, exec, s[8:9]
	v_and_b32_e32 v13, 24, v1
	v_lshlrev_b32_e32 v14, 3, v0
	v_add_u32_e32 v13, v13, v14
	s_waitcnt vmcnt(0)
	ds_write_b64 v13, v[2:3]
	v_lshrrev_b32_e32 v2, 2, v10
	v_and_b32_e32 v2, 56, v2
	v_add_u32_e32 v2, v2, v14
	ds_write_b64 v2, v[4:5] offset:1024
	v_lshrrev_b32_e32 v2, 2, v11
	v_and_b32_e32 v2, 0x78, v2
	v_add_u32_e32 v2, v2, v14
	ds_write_b64 v2, v[6:7] offset:2048
	;; [unrolled: 4-line block ×3, first 2 shown]
	s_waitcnt lgkmcnt(0)
	s_barrier
.LBB54_18:
	s_add_u32 s6, s6, s10
	v_lshlrev_b32_e32 v29, 2, v0
	v_lshrrev_b32_e32 v2, 3, v0
	s_addc_u32 s7, s7, s11
	v_add_lshl_u32 v4, v2, v29, 3
	ds_read2_b64 v[14:17], v4 offset1:1
	ds_read2_b64 v[10:13], v4 offset0:2 offset1:3
	s_add_u32 s8, s6, s14
	s_addc_u32 s9, s7, 0
	v_mov_b32_e32 v3, s9
	v_add_co_u32_e32 v2, vcc, s8, v0
	v_addc_co_u32_e32 v3, vcc, v19, v3, vcc
	s_mov_b64 s[6:7], -1
	s_and_b64 vcc, exec, s[28:29]
	s_waitcnt lgkmcnt(0)
	s_barrier
	s_cbranch_vccz .LBB54_20
; %bb.19:
	v_and_b32_e32 v5, 24, v1
	v_lshlrev_b32_e32 v20, 3, v0
	v_add_u32_e32 v5, v5, v20
	ds_write_b64 v5, v[2:3]
	v_or_b32_e32 v5, 0x80, v0
	v_lshrrev_b32_e32 v5, 2, v5
	v_add_co_u32_e32 v6, vcc, 0x80, v2
	v_and_b32_e32 v5, 56, v5
	v_addc_co_u32_e32 v7, vcc, 0, v3, vcc
	v_add_u32_e32 v5, v5, v20
	ds_write_b64 v5, v[6:7] offset:1024
	v_or_b32_e32 v5, 0x100, v0
	v_lshrrev_b32_e32 v5, 2, v5
	v_add_co_u32_e32 v8, vcc, 0x100, v2
	v_and_b32_e32 v5, 0x58, v5
	v_addc_co_u32_e32 v9, vcc, 0, v3, vcc
	v_add_u32_e32 v5, v5, v20
	ds_write_b64 v5, v[8:9] offset:2048
	;; [unrolled: 7-line block ×3, first 2 shown]
	s_waitcnt lgkmcnt(0)
	s_barrier
	s_mov_b64 s[6:7], 0
.LBB54_20:
	s_andn2_b64 vcc, exec, s[6:7]
	s_cbranch_vccnz .LBB54_22
; %bb.21:
	v_and_b32_e32 v1, 24, v1
	v_lshlrev_b32_e32 v22, 3, v0
	v_or_b32_e32 v5, 0x80, v0
	v_add_u32_e32 v1, v1, v22
	ds_write_b64 v1, v[2:3]
	v_lshrrev_b32_e32 v1, 2, v5
	v_mov_b32_e32 v7, s9
	v_add_co_u32_e32 v6, vcc, s8, v5
	v_and_b32_e32 v1, 56, v1
	v_addc_co_u32_e32 v7, vcc, 0, v7, vcc
	v_or_b32_e32 v20, 0x100, v0
	v_add_u32_e32 v1, v1, v22
	ds_write_b64 v1, v[6:7] offset:1024
	v_lshrrev_b32_e32 v1, 2, v20
	v_mov_b32_e32 v9, s9
	v_add_co_u32_e32 v8, vcc, s8, v20
	v_and_b32_e32 v1, 0x58, v1
	v_addc_co_u32_e32 v9, vcc, 0, v9, vcc
	v_or_b32_e32 v21, 0x180, v0
	v_add_u32_e32 v1, v1, v22
	ds_write_b64 v1, v[8:9] offset:2048
	v_lshrrev_b32_e32 v1, 2, v21
	v_mov_b32_e32 v19, s9
	v_add_co_u32_e32 v18, vcc, s8, v21
	v_and_b32_e32 v1, 0x78, v1
	v_addc_co_u32_e32 v19, vcc, 0, v19, vcc
	v_add_u32_e32 v1, v1, v22
	ds_write_b64 v1, v[18:19] offset:3072
	s_waitcnt lgkmcnt(0)
	s_barrier
.LBB54_22:
	ds_read2_b64 v[6:9], v4 offset1:1
	ds_read2_b64 v[2:5], v4 offset0:2 offset1:3
	s_cmp_lg_u32 s33, 0
	s_cselect_b64 s[16:17], -1, 0
	s_cmp_lg_u64 s[10:11], 0
	s_cselect_b64 s[6:7], -1, 0
	s_or_b64 s[6:7], s[6:7], s[16:17]
	s_mov_b64 s[14:15], 0
	s_and_b64 vcc, exec, s[6:7]
	s_waitcnt lgkmcnt(0)
	s_barrier
	s_cbranch_vccz .LBB54_27
; %bb.23:
	v_mov_b32_e32 v1, 0
	global_load_dwordx2 v[18:19], v1, s[4:5] offset:-8
	v_lshlrev_b32_e32 v22, 3, v0
	s_and_b64 vcc, exec, s[28:29]
	ds_write_b64 v22, v[12:13]
	s_cbranch_vccz .LBB54_28
; %bb.24:
	s_waitcnt vmcnt(0)
	v_pk_mov_b32 v[20:21], v[18:19], v[18:19] op_sel:[0,1]
	s_waitcnt lgkmcnt(0)
	s_barrier
	s_and_saveexec_b64 s[4:5], s[2:3]
	s_cbranch_execz .LBB54_26
; %bb.25:
	v_add_u32_e32 v1, -8, v22
	ds_read_b64 v[20:21], v1
.LBB54_26:
	s_or_b64 exec, exec, s[4:5]
	v_cmp_ne_u64_e32 vcc, v[10:11], v[12:13]
	v_cndmask_b32_e64 v1, 0, 1, vcc
	v_cmp_ne_u64_e32 vcc, v[16:17], v[10:11]
	v_cndmask_b32_e64 v23, 0, 1, vcc
	v_cmp_ne_u64_e32 vcc, v[14:15], v[16:17]
	v_cndmask_b32_e64 v24, 0, 1, vcc
	v_lshlrev_b16_e32 v1, 8, v1
	v_or_b32_sdwa v1, v23, v1 dst_sel:WORD_1 dst_unused:UNUSED_PAD src0_sel:DWORD src1_sel:DWORD
	v_lshlrev_b16_e32 v23, 8, v24
	v_or_b32_e32 v1, v23, v1
	s_waitcnt lgkmcnt(0)
	v_cmp_ne_u64_e64 s[4:5], v[20:21], v[14:15]
	s_branch .LBB54_32
.LBB54_27:
                                        ; implicit-def: $sgpr4_sgpr5
                                        ; implicit-def: $vgpr1
	s_branch .LBB54_33
.LBB54_28:
                                        ; implicit-def: $sgpr4_sgpr5
                                        ; implicit-def: $vgpr1
	s_cbranch_execz .LBB54_32
; %bb.29:
	s_waitcnt lgkmcnt(0)
	s_barrier
	s_and_saveexec_b64 s[4:5], s[2:3]
	s_cbranch_execz .LBB54_31
; %bb.30:
	v_add_u32_e32 v1, -8, v22
	s_waitcnt vmcnt(0)
	ds_read_b64 v[18:19], v1
.LBB54_31:
	s_or_b64 exec, exec, s[4:5]
	v_or_b32_e32 v1, 3, v29
	v_cmp_gt_u32_e32 vcc, s34, v1
	v_cmp_ne_u64_e64 s[4:5], v[10:11], v[12:13]
	s_and_b64 s[4:5], vcc, s[4:5]
	v_or_b32_e32 v20, 2, v29
	v_cndmask_b32_e64 v1, 0, 1, s[4:5]
	v_cmp_gt_u32_e32 vcc, s34, v20
	v_cmp_ne_u64_e64 s[4:5], v[16:17], v[10:11]
	s_and_b64 s[4:5], vcc, s[4:5]
	v_or_b32_e32 v21, 1, v29
	v_cndmask_b32_e64 v20, 0, 1, s[4:5]
	v_cmp_gt_u32_e32 vcc, s34, v21
	v_cmp_ne_u64_e64 s[4:5], v[14:15], v[16:17]
	s_and_b64 s[4:5], vcc, s[4:5]
	v_cndmask_b32_e64 v21, 0, 1, s[4:5]
	v_lshlrev_b16_e32 v1, 8, v1
	v_or_b32_sdwa v1, v20, v1 dst_sel:WORD_1 dst_unused:UNUSED_PAD src0_sel:DWORD src1_sel:DWORD
	v_lshlrev_b16_e32 v20, 8, v21
	v_cmp_gt_u32_e32 vcc, s34, v29
	s_waitcnt vmcnt(0) lgkmcnt(0)
	v_cmp_ne_u64_e64 s[4:5], v[18:19], v[14:15]
	v_or_b32_e32 v1, v20, v1
	s_and_b64 s[4:5], vcc, s[4:5]
.LBB54_32:
	s_mov_b64 s[14:15], -1
	s_cbranch_execnz .LBB54_41
.LBB54_33:
	s_waitcnt vmcnt(0)
	v_lshlrev_b32_e32 v18, 3, v0
	s_and_b64 vcc, exec, s[28:29]
	v_cmp_ne_u64_e64 s[4:5], v[10:11], v[12:13]
	v_cmp_ne_u64_e64 s[6:7], v[16:17], v[10:11]
	;; [unrolled: 1-line block ×3, first 2 shown]
	ds_write_b64 v18, v[12:13]
	s_cbranch_vccz .LBB54_37
; %bb.34:
	v_cndmask_b32_e64 v1, 0, 1, s[4:5]
	v_cndmask_b32_e64 v19, 0, 1, s[6:7]
	;; [unrolled: 1-line block ×3, first 2 shown]
	v_lshlrev_b16_e32 v1, 8, v1
	v_or_b32_sdwa v1, v19, v1 dst_sel:WORD_1 dst_unused:UNUSED_PAD src0_sel:DWORD src1_sel:DWORD
	v_lshlrev_b16_e32 v19, 8, v20
	v_or_b32_e32 v19, 1, v19
	v_or_b32_sdwa v1, v19, v1 dst_sel:DWORD dst_unused:UNUSED_PAD src0_sel:WORD_0 src1_sel:DWORD
	s_waitcnt lgkmcnt(0)
	s_barrier
	s_waitcnt lgkmcnt(0)
                                        ; implicit-def: $sgpr4_sgpr5
	s_and_saveexec_b64 s[6:7], s[2:3]
	s_xor_b64 s[6:7], exec, s[6:7]
	s_cbranch_execz .LBB54_36
; %bb.35:
	v_add_u32_e32 v19, -8, v18
	ds_read_b64 v[20:21], v19
	s_or_b64 s[14:15], s[14:15], exec
	s_waitcnt lgkmcnt(0)
	v_cmp_ne_u64_e32 vcc, v[20:21], v[14:15]
	s_and_b64 s[4:5], vcc, exec
.LBB54_36:
	s_or_b64 exec, exec, s[6:7]
	s_branch .LBB54_41
.LBB54_37:
                                        ; implicit-def: $sgpr4_sgpr5
                                        ; implicit-def: $vgpr1
	s_cbranch_execz .LBB54_41
; %bb.38:
	v_or_b32_e32 v1, 3, v29
	v_cmp_gt_u32_e32 vcc, s34, v1
	v_cmp_ne_u64_e64 s[4:5], v[10:11], v[12:13]
	s_and_b64 s[4:5], vcc, s[4:5]
	v_or_b32_e32 v19, 2, v29
	v_cndmask_b32_e64 v1, 0, 1, s[4:5]
	v_cmp_gt_u32_e32 vcc, s34, v19
	v_cmp_ne_u64_e64 s[4:5], v[16:17], v[10:11]
	s_and_b64 s[4:5], vcc, s[4:5]
	v_or_b32_e32 v20, 1, v29
	v_cndmask_b32_e64 v19, 0, 1, s[4:5]
	v_cmp_gt_u32_e32 vcc, s34, v20
	v_cmp_ne_u64_e64 s[4:5], v[14:15], v[16:17]
	s_and_b64 s[4:5], vcc, s[4:5]
	v_cndmask_b32_e64 v20, 0, 1, s[4:5]
	v_lshlrev_b16_e32 v1, 8, v1
	v_or_b32_sdwa v1, v19, v1 dst_sel:WORD_1 dst_unused:UNUSED_PAD src0_sel:DWORD src1_sel:DWORD
	v_lshlrev_b16_e32 v19, 8, v20
	v_or_b32_e32 v19, 1, v19
	v_or_b32_sdwa v1, v19, v1 dst_sel:DWORD dst_unused:UNUSED_PAD src0_sel:WORD_0 src1_sel:DWORD
	s_waitcnt lgkmcnt(0)
	s_barrier
	s_waitcnt lgkmcnt(0)
                                        ; implicit-def: $sgpr4_sgpr5
	s_and_saveexec_b64 s[6:7], s[2:3]
	s_cbranch_execz .LBB54_40
; %bb.39:
	v_add_u32_e32 v18, -8, v18
	ds_read_b64 v[18:19], v18
	v_cmp_gt_u32_e32 vcc, s34, v29
	s_or_b64 s[14:15], s[14:15], exec
	s_waitcnt lgkmcnt(0)
	v_cmp_ne_u64_e64 s[2:3], v[18:19], v[14:15]
	s_and_b64 s[2:3], vcc, s[2:3]
	s_and_b64 s[4:5], s[2:3], exec
.LBB54_40:
	s_or_b64 exec, exec, s[6:7]
.LBB54_41:
	s_and_saveexec_b64 s[2:3], s[14:15]
	s_cbranch_execz .LBB54_43
; %bb.42:
	s_waitcnt vmcnt(0)
	v_and_b32_e32 v18, 0xffffff00, v1
	v_cndmask_b32_e64 v19, 0, 1, s[4:5]
	v_or_b32_e32 v18, v19, v18
	v_and_b32_e32 v18, 0xffff, v18
	s_mov_b32 s4, 0xffff0000
	v_and_or_b32 v1, v1, s4, v18
.LBB54_43:
	s_or_b64 exec, exec, s[2:3]
	s_andn2_b64 vcc, exec, s[12:13]
	s_cbranch_vccnz .LBB54_45
; %bb.44:
	v_cmp_gt_u32_e32 vcc, s34, v29
	s_waitcnt vmcnt(0)
	v_cndmask_b32_e32 v18, 0, v1, vcc
	v_or_b32_e32 v19, 1, v29
	v_and_b32_e32 v18, 0xff, v18
	v_cmp_gt_u32_e32 vcc, s34, v19
	v_cndmask_b32_e32 v18, v18, v1, vcc
	v_or_b32_e32 v19, 2, v29
	v_and_b32_e32 v18, 0xffff, v18
	v_cmp_gt_u32_e32 vcc, s34, v19
	;; [unrolled: 4-line block ×3, first 2 shown]
	v_cndmask_b32_e32 v1, v18, v1, vcc
.LBB54_45:
	v_bfe_u32 v30, v1, 16, 8
	v_lshrrev_b32_e32 v28, 24, v1
	s_waitcnt vmcnt(0)
	v_add_u32_sdwa v18, v1, v1 dst_sel:DWORD dst_unused:UNUSED_PAD src0_sel:BYTE_1 src1_sel:BYTE_0
	v_add3_u32 v33, v18, v30, v28
	v_mbcnt_lo_u32_b32 v18, -1, 0
	v_mbcnt_hi_u32_b32 v31, -1, v18
	v_and_b32_e32 v18, 15, v31
	v_cmp_eq_u32_e64 s[14:15], 0, v18
	v_cmp_lt_u32_e64 s[12:13], 1, v18
	v_cmp_lt_u32_e64 s[10:11], 3, v18
	;; [unrolled: 1-line block ×3, first 2 shown]
	v_and_b32_e32 v18, 16, v31
	v_cmp_eq_u32_e64 s[6:7], 0, v18
	v_or_b32_e32 v18, 63, v0
	v_cmp_lt_u32_e64 s[2:3], 31, v31
	v_lshrrev_b32_e32 v32, 6, v0
	v_cmp_eq_u32_e64 s[4:5], v18, v0
	s_and_b64 vcc, exec, s[16:17]
	s_waitcnt lgkmcnt(0)
	s_barrier
	s_cbranch_vccz .LBB54_76
; %bb.46:
	v_mov_b32_dpp v18, v33 row_shr:1 row_mask:0xf bank_mask:0xf
	v_cndmask_b32_e64 v18, v18, 0, s[14:15]
	v_add_u32_e32 v18, v18, v33
	s_nop 1
	v_mov_b32_dpp v19, v18 row_shr:2 row_mask:0xf bank_mask:0xf
	v_cndmask_b32_e64 v19, 0, v19, s[12:13]
	v_add_u32_e32 v18, v18, v19
	s_nop 1
	;; [unrolled: 4-line block ×4, first 2 shown]
	v_mov_b32_dpp v19, v18 row_bcast:15 row_mask:0xf bank_mask:0xf
	v_cndmask_b32_e64 v19, v19, 0, s[6:7]
	v_add_u32_e32 v18, v18, v19
	s_nop 1
	v_mov_b32_dpp v19, v18 row_bcast:31 row_mask:0xf bank_mask:0xf
	v_cndmask_b32_e64 v19, 0, v19, s[2:3]
	v_add_u32_e32 v18, v18, v19
	s_and_saveexec_b64 s[16:17], s[4:5]
	s_cbranch_execz .LBB54_48
; %bb.47:
	v_lshlrev_b32_e32 v19, 2, v32
	ds_write_b32 v19, v18
.LBB54_48:
	s_or_b64 exec, exec, s[16:17]
	v_cmp_gt_u32_e32 vcc, 2, v0
	s_waitcnt lgkmcnt(0)
	s_barrier
	s_and_saveexec_b64 s[16:17], vcc
	s_cbranch_execz .LBB54_50
; %bb.49:
	ds_read_b32 v19, v29
	v_bfe_i32 v20, v31, 0, 1
	s_waitcnt lgkmcnt(0)
	v_mov_b32_dpp v21, v19 row_shr:1 row_mask:0xf bank_mask:0xf
	v_and_b32_e32 v20, v20, v21
	v_add_u32_e32 v19, v20, v19
	ds_write_b32 v29, v19
.LBB54_50:
	s_or_b64 exec, exec, s[16:17]
	v_cmp_gt_u32_e32 vcc, 64, v0
	v_cmp_lt_u32_e64 s[16:17], 63, v0
	s_waitcnt lgkmcnt(0)
	s_barrier
	s_waitcnt lgkmcnt(0)
                                        ; implicit-def: $vgpr34
	s_and_saveexec_b64 s[34:35], s[16:17]
	s_cbranch_execz .LBB54_52
; %bb.51:
	v_lshl_add_u32 v19, v32, 2, -4
	ds_read_b32 v34, v19
	s_waitcnt lgkmcnt(0)
	v_add_u32_e32 v18, v34, v18
.LBB54_52:
	s_or_b64 exec, exec, s[34:35]
	v_add_u32_e32 v19, -1, v31
	v_and_b32_e32 v20, 64, v31
	v_cmp_lt_i32_e64 s[16:17], v19, v20
	v_cndmask_b32_e64 v19, v19, v31, s[16:17]
	v_lshlrev_b32_e32 v19, 2, v19
	ds_bpermute_b32 v35, v19, v18
	v_cmp_eq_u32_e64 s[16:17], 0, v31
	s_and_saveexec_b64 s[34:35], vcc
	s_cbranch_execz .LBB54_75
; %bb.53:
	v_mov_b32_e32 v27, 0
	ds_read_b32 v18, v27 offset:4
	s_and_saveexec_b64 s[36:37], s[16:17]
	s_cbranch_execz .LBB54_55
; %bb.54:
	s_add_i32 s38, s33, 64
	s_mov_b32 s39, 0
	s_lshl_b64 s[38:39], s[38:39], 3
	s_add_u32 s38, s30, s38
	v_mov_b32_e32 v19, 1
	s_addc_u32 s39, s31, s39
	s_waitcnt lgkmcnt(0)
	global_store_dwordx2 v27, v[18:19], s[38:39]
.LBB54_55:
	s_or_b64 exec, exec, s[36:37]
	v_xad_u32 v20, v31, -1, s33
	v_add_u32_e32 v26, 64, v20
	v_lshlrev_b64 v[22:23], 3, v[26:27]
	v_mov_b32_e32 v19, s31
	v_add_co_u32_e32 v22, vcc, s30, v22
	v_addc_co_u32_e32 v23, vcc, v19, v23, vcc
	global_load_dwordx2 v[24:25], v[22:23], off glc
	s_waitcnt vmcnt(0)
	v_cmp_eq_u16_sdwa s[38:39], v25, v27 src0_sel:BYTE_0 src1_sel:DWORD
	s_and_saveexec_b64 s[36:37], s[38:39]
	s_cbranch_execz .LBB54_61
; %bb.56:
	s_mov_b32 s40, 1
	s_mov_b64 s[38:39], 0
	v_mov_b32_e32 v19, 0
.LBB54_57:                              ; =>This Loop Header: Depth=1
                                        ;     Child Loop BB54_58 Depth 2
	s_max_u32 s41, s40, 1
.LBB54_58:                              ;   Parent Loop BB54_57 Depth=1
                                        ; =>  This Inner Loop Header: Depth=2
	s_add_i32 s41, s41, -1
	s_cmp_eq_u32 s41, 0
	s_sleep 1
	s_cbranch_scc0 .LBB54_58
; %bb.59:                               ;   in Loop: Header=BB54_57 Depth=1
	global_load_dwordx2 v[24:25], v[22:23], off glc
	s_cmp_lt_u32 s40, 32
	s_cselect_b64 s[42:43], -1, 0
	s_cmp_lg_u64 s[42:43], 0
	s_addc_u32 s40, s40, 0
	s_waitcnt vmcnt(0)
	v_cmp_ne_u16_sdwa s[42:43], v25, v19 src0_sel:BYTE_0 src1_sel:DWORD
	s_or_b64 s[38:39], s[42:43], s[38:39]
	s_andn2_b64 exec, exec, s[38:39]
	s_cbranch_execnz .LBB54_57
; %bb.60:
	s_or_b64 exec, exec, s[38:39]
.LBB54_61:
	s_or_b64 exec, exec, s[36:37]
	v_and_b32_e32 v37, 63, v31
	v_mov_b32_e32 v36, 2
	v_cmp_ne_u32_e32 vcc, 63, v37
	v_cmp_eq_u16_sdwa s[36:37], v25, v36 src0_sel:BYTE_0 src1_sel:DWORD
	v_lshlrev_b64 v[22:23], v31, -1
	v_addc_co_u32_e32 v26, vcc, 0, v31, vcc
	v_and_b32_e32 v19, s37, v23
	v_lshlrev_b32_e32 v38, 2, v26
	v_or_b32_e32 v19, 0x80000000, v19
	ds_bpermute_b32 v26, v38, v24
	v_and_b32_e32 v21, s36, v22
	v_ffbl_b32_e32 v19, v19
	v_add_u32_e32 v19, 32, v19
	v_ffbl_b32_e32 v21, v21
	v_min_u32_e32 v19, v21, v19
	v_cmp_lt_u32_e32 vcc, v37, v19
	s_waitcnt lgkmcnt(0)
	v_cndmask_b32_e32 v21, 0, v26, vcc
	v_cmp_gt_u32_e32 vcc, 62, v37
	v_add_u32_e32 v21, v21, v24
	v_cndmask_b32_e64 v24, 0, 1, vcc
	v_lshlrev_b32_e32 v24, 1, v24
	v_add_lshl_u32 v39, v24, v31, 2
	ds_bpermute_b32 v24, v39, v21
	v_add_u32_e32 v40, 2, v37
	v_cmp_le_u32_e32 vcc, v40, v19
	v_add_u32_e32 v42, 4, v37
	v_add_u32_e32 v44, 8, v37
	s_waitcnt lgkmcnt(0)
	v_cndmask_b32_e32 v24, 0, v24, vcc
	v_cmp_gt_u32_e32 vcc, 60, v37
	v_add_u32_e32 v21, v21, v24
	v_cndmask_b32_e64 v24, 0, 1, vcc
	v_lshlrev_b32_e32 v24, 2, v24
	v_add_lshl_u32 v41, v24, v31, 2
	ds_bpermute_b32 v24, v41, v21
	v_cmp_le_u32_e32 vcc, v42, v19
	v_add_u32_e32 v46, 16, v37
	v_add_u32_e32 v48, 32, v37
	s_waitcnt lgkmcnt(0)
	v_cndmask_b32_e32 v24, 0, v24, vcc
	v_cmp_gt_u32_e32 vcc, 56, v37
	v_add_u32_e32 v21, v21, v24
	v_cndmask_b32_e64 v24, 0, 1, vcc
	v_lshlrev_b32_e32 v24, 3, v24
	v_add_lshl_u32 v43, v24, v31, 2
	ds_bpermute_b32 v24, v43, v21
	v_cmp_le_u32_e32 vcc, v44, v19
	s_waitcnt lgkmcnt(0)
	v_cndmask_b32_e32 v24, 0, v24, vcc
	v_cmp_gt_u32_e32 vcc, 48, v37
	v_add_u32_e32 v21, v21, v24
	v_cndmask_b32_e64 v24, 0, 1, vcc
	v_lshlrev_b32_e32 v24, 4, v24
	v_add_lshl_u32 v45, v24, v31, 2
	ds_bpermute_b32 v24, v45, v21
	v_cmp_le_u32_e32 vcc, v46, v19
	;; [unrolled: 9-line block ×3, first 2 shown]
	s_waitcnt lgkmcnt(0)
	v_cndmask_b32_e32 v19, 0, v24, vcc
	v_add_u32_e32 v24, v21, v19
	v_mov_b32_e32 v21, 0
	s_branch .LBB54_63
.LBB54_62:                              ;   in Loop: Header=BB54_63 Depth=1
	s_or_b64 exec, exec, s[36:37]
	v_cmp_eq_u16_sdwa s[36:37], v25, v36 src0_sel:BYTE_0 src1_sel:DWORD
	v_and_b32_e32 v26, s37, v23
	v_or_b32_e32 v26, 0x80000000, v26
	ds_bpermute_b32 v49, v38, v24
	v_and_b32_e32 v27, s36, v22
	v_ffbl_b32_e32 v26, v26
	v_add_u32_e32 v26, 32, v26
	v_ffbl_b32_e32 v27, v27
	v_min_u32_e32 v26, v27, v26
	v_cmp_lt_u32_e32 vcc, v37, v26
	s_waitcnt lgkmcnt(0)
	v_cndmask_b32_e32 v27, 0, v49, vcc
	v_add_u32_e32 v24, v27, v24
	ds_bpermute_b32 v27, v39, v24
	v_cmp_le_u32_e32 vcc, v40, v26
	v_subrev_u32_e32 v20, 64, v20
	s_waitcnt lgkmcnt(0)
	v_cndmask_b32_e32 v27, 0, v27, vcc
	v_add_u32_e32 v24, v24, v27
	ds_bpermute_b32 v27, v41, v24
	v_cmp_le_u32_e32 vcc, v42, v26
	s_waitcnt lgkmcnt(0)
	v_cndmask_b32_e32 v27, 0, v27, vcc
	v_add_u32_e32 v24, v24, v27
	ds_bpermute_b32 v27, v43, v24
	v_cmp_le_u32_e32 vcc, v44, v26
	;; [unrolled: 5-line block ×4, first 2 shown]
	s_waitcnt lgkmcnt(0)
	v_cndmask_b32_e32 v26, 0, v27, vcc
	v_add3_u32 v24, v26, v19, v24
.LBB54_63:                              ; =>This Loop Header: Depth=1
                                        ;     Child Loop BB54_66 Depth 2
                                        ;       Child Loop BB54_67 Depth 3
	v_cmp_ne_u16_sdwa s[36:37], v25, v36 src0_sel:BYTE_0 src1_sel:DWORD
	v_cndmask_b32_e64 v19, 0, 1, s[36:37]
	;;#ASMSTART
	;;#ASMEND
	v_cmp_ne_u32_e32 vcc, 0, v19
	s_cmp_lg_u64 vcc, exec
	v_mov_b32_e32 v19, v24
	s_cbranch_scc1 .LBB54_70
; %bb.64:                               ;   in Loop: Header=BB54_63 Depth=1
	v_lshlrev_b64 v[24:25], 3, v[20:21]
	v_mov_b32_e32 v27, s31
	v_add_co_u32_e32 v26, vcc, s30, v24
	v_addc_co_u32_e32 v27, vcc, v27, v25, vcc
	global_load_dwordx2 v[24:25], v[26:27], off glc
	s_waitcnt vmcnt(0)
	v_cmp_eq_u16_sdwa s[38:39], v25, v21 src0_sel:BYTE_0 src1_sel:DWORD
	s_and_saveexec_b64 s[36:37], s[38:39]
	s_cbranch_execz .LBB54_62
; %bb.65:                               ;   in Loop: Header=BB54_63 Depth=1
	s_mov_b32 s40, 1
	s_mov_b64 s[38:39], 0
.LBB54_66:                              ;   Parent Loop BB54_63 Depth=1
                                        ; =>  This Loop Header: Depth=2
                                        ;       Child Loop BB54_67 Depth 3
	s_max_u32 s41, s40, 1
.LBB54_67:                              ;   Parent Loop BB54_63 Depth=1
                                        ;     Parent Loop BB54_66 Depth=2
                                        ; =>    This Inner Loop Header: Depth=3
	s_add_i32 s41, s41, -1
	s_cmp_eq_u32 s41, 0
	s_sleep 1
	s_cbranch_scc0 .LBB54_67
; %bb.68:                               ;   in Loop: Header=BB54_66 Depth=2
	global_load_dwordx2 v[24:25], v[26:27], off glc
	s_cmp_lt_u32 s40, 32
	s_cselect_b64 s[42:43], -1, 0
	s_cmp_lg_u64 s[42:43], 0
	s_addc_u32 s40, s40, 0
	s_waitcnt vmcnt(0)
	v_cmp_ne_u16_sdwa s[42:43], v25, v21 src0_sel:BYTE_0 src1_sel:DWORD
	s_or_b64 s[38:39], s[42:43], s[38:39]
	s_andn2_b64 exec, exec, s[38:39]
	s_cbranch_execnz .LBB54_66
; %bb.69:                               ;   in Loop: Header=BB54_63 Depth=1
	s_or_b64 exec, exec, s[38:39]
	s_branch .LBB54_62
.LBB54_70:                              ;   in Loop: Header=BB54_63 Depth=1
                                        ; implicit-def: $vgpr24
                                        ; implicit-def: $vgpr25
	s_cbranch_execz .LBB54_63
; %bb.71:
	s_and_saveexec_b64 s[36:37], s[16:17]
	s_cbranch_execz .LBB54_73
; %bb.72:
	s_add_i32 s38, s33, 64
	s_mov_b32 s39, 0
	s_lshl_b64 s[38:39], s[38:39], 3
	s_add_u32 s38, s30, s38
	v_add_u32_e32 v20, v19, v18
	v_mov_b32_e32 v21, 2
	s_addc_u32 s39, s31, s39
	v_mov_b32_e32 v22, 0
	global_store_dwordx2 v22, v[20:21], s[38:39]
	ds_write_b64 v22, v[18:19] offset:4224
.LBB54_73:
	s_or_b64 exec, exec, s[36:37]
	s_and_b64 exec, exec, s[0:1]
	s_cbranch_execz .LBB54_75
; %bb.74:
	v_mov_b32_e32 v18, 0
	ds_write_b32 v18, v19 offset:4
.LBB54_75:
	s_or_b64 exec, exec, s[34:35]
	v_mov_b32_e32 v19, 0
	s_waitcnt lgkmcnt(0)
	s_barrier
	ds_read_b32 v20, v19 offset:4
	v_cndmask_b32_e64 v18, v35, v34, s[16:17]
	s_waitcnt lgkmcnt(0)
	s_barrier
	ds_read_b64 v[26:27], v19 offset:4224
	v_cndmask_b32_e64 v18, v18, 0, s[0:1]
	v_add_u32_e32 v24, v20, v18
	v_add_u32_sdwa v22, v24, v1 dst_sel:DWORD dst_unused:UNUSED_PAD src0_sel:DWORD src1_sel:BYTE_0
	v_add_u32_sdwa v20, v22, v1 dst_sel:DWORD dst_unused:UNUSED_PAD src0_sel:DWORD src1_sel:BYTE_1
	v_add_u32_e32 v18, v20, v30
	s_waitcnt lgkmcnt(0)
	v_readfirstlane_b32 s33, v26
	v_readfirstlane_b32 s16, v27
	s_branch .LBB54_86
.LBB54_76:
                                        ; implicit-def: $sgpr16
                                        ; implicit-def: $sgpr33
                                        ; implicit-def: $vgpr18
                                        ; implicit-def: $vgpr20
                                        ; implicit-def: $vgpr22
                                        ; implicit-def: $vgpr24
	s_cbranch_execz .LBB54_86
; %bb.77:
	s_nop 0
	v_mov_b32_dpp v18, v33 row_shr:1 row_mask:0xf bank_mask:0xf
	v_cndmask_b32_e64 v18, v18, 0, s[14:15]
	v_add_u32_e32 v18, v18, v33
	s_nop 1
	v_mov_b32_dpp v19, v18 row_shr:2 row_mask:0xf bank_mask:0xf
	v_cndmask_b32_e64 v19, 0, v19, s[12:13]
	v_add_u32_e32 v18, v18, v19
	;; [unrolled: 4-line block ×4, first 2 shown]
	s_nop 1
	v_mov_b32_dpp v19, v18 row_bcast:15 row_mask:0xf bank_mask:0xf
	v_cndmask_b32_e64 v19, v19, 0, s[6:7]
	v_add_u32_e32 v18, v18, v19
	s_nop 1
	v_mov_b32_dpp v19, v18 row_bcast:31 row_mask:0xf bank_mask:0xf
	v_cndmask_b32_e64 v19, 0, v19, s[2:3]
	v_add_u32_e32 v18, v18, v19
	s_and_saveexec_b64 s[2:3], s[4:5]
	s_cbranch_execz .LBB54_79
; %bb.78:
	v_lshlrev_b32_e32 v19, 2, v32
	ds_write_b32 v19, v18
.LBB54_79:
	s_or_b64 exec, exec, s[2:3]
	v_cmp_gt_u32_e32 vcc, 2, v0
	s_waitcnt lgkmcnt(0)
	s_barrier
	s_and_saveexec_b64 s[2:3], vcc
	s_cbranch_execz .LBB54_81
; %bb.80:
	ds_read_b32 v19, v29
	v_bfe_i32 v20, v31, 0, 1
	s_waitcnt lgkmcnt(0)
	v_mov_b32_dpp v21, v19 row_shr:1 row_mask:0xf bank_mask:0xf
	v_and_b32_e32 v20, v20, v21
	v_add_u32_e32 v19, v20, v19
	ds_write_b32 v29, v19
.LBB54_81:
	s_or_b64 exec, exec, s[2:3]
	v_cmp_lt_u32_e32 vcc, 63, v0
	v_mov_b32_e32 v20, 0
	v_mov_b32_e32 v19, 0
	s_waitcnt lgkmcnt(0)
	s_barrier
	s_and_saveexec_b64 s[2:3], vcc
	s_cbranch_execz .LBB54_83
; %bb.82:
	v_lshl_add_u32 v19, v32, 2, -4
	ds_read_b32 v19, v19
.LBB54_83:
	s_or_b64 exec, exec, s[2:3]
	v_add_u32_e32 v21, -1, v31
	v_and_b32_e32 v22, 64, v31
	v_cmp_lt_i32_e32 vcc, v21, v22
	v_cndmask_b32_e32 v21, v21, v31, vcc
	s_waitcnt lgkmcnt(0)
	v_add_u32_e32 v18, v19, v18
	v_lshlrev_b32_e32 v21, 2, v21
	ds_read_b32 v20, v20 offset:4
	ds_bpermute_b32 v18, v21, v18
	s_waitcnt lgkmcnt(1)
	v_readfirstlane_b32 s33, v20
	s_and_saveexec_b64 s[2:3], s[0:1]
	s_cbranch_execz .LBB54_85
; %bb.84:
	v_mov_b32_e32 v22, 0
	v_mov_b32_e32 v20, s33
	;; [unrolled: 1-line block ×3, first 2 shown]
	global_store_dwordx2 v22, v[20:21], s[30:31] offset:512
.LBB54_85:
	s_or_b64 exec, exec, s[2:3]
	v_cmp_eq_u32_e32 vcc, 0, v31
	s_waitcnt lgkmcnt(0)
	v_cndmask_b32_e32 v18, v18, v19, vcc
	v_cndmask_b32_e64 v24, v18, 0, s[0:1]
	v_add_u32_sdwa v22, v24, v1 dst_sel:DWORD dst_unused:UNUSED_PAD src0_sel:DWORD src1_sel:BYTE_0
	v_add_u32_sdwa v20, v22, v1 dst_sel:DWORD dst_unused:UNUSED_PAD src0_sel:DWORD src1_sel:BYTE_1
	s_mov_b32 s16, 0
	v_add_u32_e32 v18, v20, v30
	s_barrier
.LBB54_86:
	s_cmpk_lt_u32 s33, 0x81
	s_cselect_b64 s[4:5], -1, 0
	v_lshrrev_b32_e32 v26, 8, v1
	s_mov_b64 s[2:3], -1
	s_and_b64 vcc, exec, s[4:5]
	s_cbranch_vccz .LBB54_100
; %bb.87:
	s_add_i32 s6, s16, s33
	v_cmp_gt_u32_e32 vcc, s6, v24
	s_or_b64 s[8:9], s[28:29], vcc
	s_and_saveexec_b64 s[2:3], s[8:9]
	s_cbranch_execz .LBB54_90
; %bb.88:
	v_and_b32_e32 v19, 1, v1
	v_cmp_eq_u32_e32 vcc, 1, v19
	s_and_b64 exec, exec, vcc
	s_cbranch_execz .LBB54_90
; %bb.89:
	s_lshl_b64 s[8:9], s[18:19], 3
	s_add_u32 s7, s24, s8
	v_mov_b32_e32 v25, 0
	s_addc_u32 s8, s25, s9
	v_lshlrev_b64 v[30:31], 3, v[24:25]
	v_mov_b32_e32 v19, s8
	v_add_co_u32_e32 v30, vcc, s7, v30
	v_addc_co_u32_e32 v31, vcc, v19, v31, vcc
	global_store_dwordx2 v[30:31], v[14:15], off
.LBB54_90:
	s_or_b64 exec, exec, s[2:3]
	v_cmp_gt_u32_e32 vcc, s6, v22
	s_or_b64 s[8:9], s[28:29], vcc
	s_and_saveexec_b64 s[2:3], s[8:9]
	s_cbranch_execz .LBB54_93
; %bb.91:
	v_and_b32_e32 v19, 1, v26
	v_cmp_eq_u32_e32 vcc, 1, v19
	s_and_b64 exec, exec, vcc
	s_cbranch_execz .LBB54_93
; %bb.92:
	s_lshl_b64 s[8:9], s[18:19], 3
	s_add_u32 s7, s24, s8
	v_mov_b32_e32 v23, 0
	s_addc_u32 s8, s25, s9
	v_lshlrev_b64 v[30:31], 3, v[22:23]
	v_mov_b32_e32 v19, s8
	v_add_co_u32_e32 v30, vcc, s7, v30
	v_addc_co_u32_e32 v31, vcc, v19, v31, vcc
	global_store_dwordx2 v[30:31], v[16:17], off
.LBB54_93:
	s_or_b64 exec, exec, s[2:3]
	v_cmp_gt_u32_e32 vcc, s6, v20
	s_or_b64 s[8:9], s[28:29], vcc
	s_and_saveexec_b64 s[2:3], s[8:9]
	s_cbranch_execz .LBB54_96
; %bb.94:
	v_mov_b32_e32 v19, 1
	v_and_b32_sdwa v19, v19, v1 dst_sel:DWORD dst_unused:UNUSED_PAD src0_sel:DWORD src1_sel:WORD_1
	v_cmp_eq_u32_e32 vcc, 1, v19
	s_and_b64 exec, exec, vcc
	s_cbranch_execz .LBB54_96
; %bb.95:
	s_lshl_b64 s[8:9], s[18:19], 3
	s_add_u32 s7, s24, s8
	v_mov_b32_e32 v21, 0
	s_addc_u32 s8, s25, s9
	v_lshlrev_b64 v[30:31], 3, v[20:21]
	v_mov_b32_e32 v19, s8
	v_add_co_u32_e32 v30, vcc, s7, v30
	v_addc_co_u32_e32 v31, vcc, v19, v31, vcc
	global_store_dwordx2 v[30:31], v[10:11], off
.LBB54_96:
	s_or_b64 exec, exec, s[2:3]
	v_cmp_gt_u32_e32 vcc, s6, v18
	s_or_b64 s[6:7], s[28:29], vcc
	s_and_saveexec_b64 s[2:3], s[6:7]
	s_cbranch_execz .LBB54_99
; %bb.97:
	v_and_b32_e32 v19, 1, v28
	v_cmp_eq_u32_e32 vcc, 1, v19
	s_and_b64 exec, exec, vcc
	s_cbranch_execz .LBB54_99
; %bb.98:
	s_lshl_b64 s[6:7], s[18:19], 3
	s_add_u32 s6, s24, s6
	v_mov_b32_e32 v19, 0
	s_addc_u32 s7, s25, s7
	v_lshlrev_b64 v[30:31], 3, v[18:19]
	v_mov_b32_e32 v19, s7
	v_add_co_u32_e32 v30, vcc, s6, v30
	v_addc_co_u32_e32 v31, vcc, v19, v31, vcc
	global_store_dwordx2 v[30:31], v[12:13], off
.LBB54_99:
	s_or_b64 exec, exec, s[2:3]
	s_mov_b64 s[2:3], 0
.LBB54_100:
	v_and_b32_e32 v27, 1, v1
	s_and_b64 vcc, exec, s[2:3]
	v_cmp_eq_u32_e64 s[2:3], 1, v27
	s_cbranch_vccz .LBB54_113
; %bb.101:
	s_and_saveexec_b64 s[6:7], s[2:3]
	s_cbranch_execz .LBB54_103
; %bb.102:
	v_subrev_u32_e32 v19, s16, v24
	v_lshlrev_b32_e32 v19, 3, v19
	ds_write_b64 v19, v[14:15]
.LBB54_103:
	s_or_b64 exec, exec, s[6:7]
	v_and_b32_e32 v14, 1, v26
	v_cmp_eq_u32_e32 vcc, 1, v14
	s_and_saveexec_b64 s[2:3], vcc
	s_cbranch_execz .LBB54_105
; %bb.104:
	v_subrev_u32_e32 v14, s16, v22
	v_lshlrev_b32_e32 v14, 3, v14
	ds_write_b64 v14, v[16:17]
.LBB54_105:
	s_or_b64 exec, exec, s[2:3]
	v_mov_b32_e32 v14, 1
	v_and_b32_sdwa v14, v14, v1 dst_sel:DWORD dst_unused:UNUSED_PAD src0_sel:DWORD src1_sel:WORD_1
	v_cmp_eq_u32_e32 vcc, 1, v14
	s_and_saveexec_b64 s[2:3], vcc
	s_cbranch_execz .LBB54_107
; %bb.106:
	v_subrev_u32_e32 v14, s16, v20
	v_lshlrev_b32_e32 v14, 3, v14
	ds_write_b64 v14, v[10:11]
.LBB54_107:
	s_or_b64 exec, exec, s[2:3]
	v_and_b32_e32 v10, 1, v28
	v_cmp_eq_u32_e32 vcc, 1, v10
	s_and_saveexec_b64 s[2:3], vcc
	s_cbranch_execz .LBB54_109
; %bb.108:
	v_subrev_u32_e32 v10, s16, v18
	v_lshlrev_b32_e32 v10, 3, v10
	ds_write_b64 v10, v[12:13]
.LBB54_109:
	s_or_b64 exec, exec, s[2:3]
	v_cmp_gt_u32_e32 vcc, s33, v0
	s_waitcnt lgkmcnt(0)
	s_barrier
	s_and_saveexec_b64 s[2:3], vcc
	s_cbranch_execz .LBB54_112
; %bb.110:
	s_mov_b32 s17, 0
	s_lshl_b64 s[6:7], s[16:17], 3
	s_add_u32 s8, s24, s6
	s_addc_u32 s9, s25, s7
	s_lshl_b64 s[6:7], s[18:19], 3
	s_add_u32 s8, s8, s6
	s_addc_u32 s9, s9, s7
	v_lshlrev_b32_e32 v12, 3, v0
	s_mov_b64 s[6:7], 0
	v_mov_b32_e32 v11, 0
	v_mov_b32_e32 v13, s9
	v_mov_b32_e32 v10, v0
.LBB54_111:                             ; =>This Inner Loop Header: Depth=1
	ds_read_b64 v[14:15], v12
	v_lshlrev_b64 v[16:17], 3, v[10:11]
	v_add_co_u32_e32 v16, vcc, s8, v16
	v_add_u32_e32 v10, 0x80, v10
	v_addc_co_u32_e32 v17, vcc, v13, v17, vcc
	v_cmp_le_u32_e32 vcc, s33, v10
	v_add_u32_e32 v12, 0x400, v12
	s_or_b64 s[6:7], vcc, s[6:7]
	s_waitcnt lgkmcnt(0)
	global_store_dwordx2 v[16:17], v[14:15], off
	s_andn2_b64 exec, exec, s[6:7]
	s_cbranch_execnz .LBB54_111
.LBB54_112:
	s_or_b64 exec, exec, s[2:3]
.LBB54_113:
	s_mov_b64 s[2:3], -1
	s_and_b64 vcc, exec, s[4:5]
	s_barrier
	s_cbranch_vccnz .LBB54_117
; %bb.114:
	s_and_b64 vcc, exec, s[2:3]
	s_cbranch_vccnz .LBB54_130
.LBB54_115:
	s_and_b64 s[0:1], s[0:1], s[22:23]
	s_and_saveexec_b64 s[2:3], s[0:1]
	s_cbranch_execnz .LBB54_142
.LBB54_116:
	s_endpgm
.LBB54_117:
	s_add_i32 s4, s16, s33
	v_cmp_gt_u32_e32 vcc, s4, v24
	s_or_b64 s[6:7], s[28:29], vcc
	s_and_saveexec_b64 s[2:3], s[6:7]
	s_cbranch_execz .LBB54_120
; %bb.118:
	v_cmp_eq_u32_e32 vcc, 1, v27
	s_and_b64 exec, exec, vcc
	s_cbranch_execz .LBB54_120
; %bb.119:
	s_lshl_b64 s[6:7], s[18:19], 3
	s_add_u32 s5, s26, s6
	v_mov_b32_e32 v25, 0
	s_addc_u32 s6, s27, s7
	v_lshlrev_b64 v[10:11], 3, v[24:25]
	v_mov_b32_e32 v12, s6
	v_add_co_u32_e32 v10, vcc, s5, v10
	v_addc_co_u32_e32 v11, vcc, v12, v11, vcc
	global_store_dwordx2 v[10:11], v[6:7], off
.LBB54_120:
	s_or_b64 exec, exec, s[2:3]
	v_cmp_gt_u32_e32 vcc, s4, v22
	s_or_b64 s[6:7], s[28:29], vcc
	s_and_saveexec_b64 s[2:3], s[6:7]
	s_cbranch_execz .LBB54_123
; %bb.121:
	v_and_b32_e32 v10, 1, v26
	v_cmp_eq_u32_e32 vcc, 1, v10
	s_and_b64 exec, exec, vcc
	s_cbranch_execz .LBB54_123
; %bb.122:
	s_lshl_b64 s[6:7], s[18:19], 3
	s_add_u32 s5, s26, s6
	v_mov_b32_e32 v23, 0
	s_addc_u32 s6, s27, s7
	v_lshlrev_b64 v[10:11], 3, v[22:23]
	v_mov_b32_e32 v12, s6
	v_add_co_u32_e32 v10, vcc, s5, v10
	v_addc_co_u32_e32 v11, vcc, v12, v11, vcc
	global_store_dwordx2 v[10:11], v[8:9], off
.LBB54_123:
	s_or_b64 exec, exec, s[2:3]
	v_cmp_gt_u32_e32 vcc, s4, v20
	s_or_b64 s[6:7], s[28:29], vcc
	s_and_saveexec_b64 s[2:3], s[6:7]
	s_cbranch_execz .LBB54_126
; %bb.124:
	v_mov_b32_e32 v10, 1
	v_and_b32_sdwa v10, v10, v1 dst_sel:DWORD dst_unused:UNUSED_PAD src0_sel:DWORD src1_sel:WORD_1
	v_cmp_eq_u32_e32 vcc, 1, v10
	s_and_b64 exec, exec, vcc
	s_cbranch_execz .LBB54_126
; %bb.125:
	s_lshl_b64 s[6:7], s[18:19], 3
	s_add_u32 s5, s26, s6
	v_mov_b32_e32 v21, 0
	s_addc_u32 s6, s27, s7
	v_lshlrev_b64 v[10:11], 3, v[20:21]
	v_mov_b32_e32 v12, s6
	v_add_co_u32_e32 v10, vcc, s5, v10
	v_addc_co_u32_e32 v11, vcc, v12, v11, vcc
	global_store_dwordx2 v[10:11], v[2:3], off
.LBB54_126:
	s_or_b64 exec, exec, s[2:3]
	v_cmp_gt_u32_e32 vcc, s4, v18
	s_or_b64 s[4:5], s[28:29], vcc
	s_and_saveexec_b64 s[2:3], s[4:5]
	s_cbranch_execz .LBB54_129
; %bb.127:
	v_and_b32_e32 v10, 1, v28
	v_cmp_eq_u32_e32 vcc, 1, v10
	s_and_b64 exec, exec, vcc
	s_cbranch_execz .LBB54_129
; %bb.128:
	s_lshl_b64 s[4:5], s[18:19], 3
	s_add_u32 s4, s26, s4
	v_mov_b32_e32 v19, 0
	s_addc_u32 s5, s27, s5
	v_lshlrev_b64 v[10:11], 3, v[18:19]
	v_mov_b32_e32 v12, s5
	v_add_co_u32_e32 v10, vcc, s4, v10
	v_addc_co_u32_e32 v11, vcc, v12, v11, vcc
	global_store_dwordx2 v[10:11], v[4:5], off
.LBB54_129:
	s_or_b64 exec, exec, s[2:3]
	s_branch .LBB54_115
.LBB54_130:
	v_cmp_eq_u32_e32 vcc, 1, v27
	s_and_saveexec_b64 s[2:3], vcc
	s_cbranch_execz .LBB54_132
; %bb.131:
	v_subrev_u32_e32 v10, s16, v24
	v_lshlrev_b32_e32 v10, 3, v10
	ds_write_b64 v10, v[6:7]
.LBB54_132:
	s_or_b64 exec, exec, s[2:3]
	v_and_b32_e32 v6, 1, v26
	v_cmp_eq_u32_e32 vcc, 1, v6
	s_and_saveexec_b64 s[2:3], vcc
	s_cbranch_execz .LBB54_134
; %bb.133:
	v_subrev_u32_e32 v6, s16, v22
	v_lshlrev_b32_e32 v6, 3, v6
	ds_write_b64 v6, v[8:9]
.LBB54_134:
	s_or_b64 exec, exec, s[2:3]
	v_mov_b32_e32 v6, 1
	v_and_b32_sdwa v1, v6, v1 dst_sel:DWORD dst_unused:UNUSED_PAD src0_sel:DWORD src1_sel:WORD_1
	v_cmp_eq_u32_e32 vcc, 1, v1
	s_and_saveexec_b64 s[2:3], vcc
	s_cbranch_execz .LBB54_136
; %bb.135:
	v_subrev_u32_e32 v1, s16, v20
	v_lshlrev_b32_e32 v1, 3, v1
	ds_write_b64 v1, v[2:3]
.LBB54_136:
	s_or_b64 exec, exec, s[2:3]
	v_and_b32_e32 v1, 1, v28
	v_cmp_eq_u32_e32 vcc, 1, v1
	s_and_saveexec_b64 s[2:3], vcc
	s_cbranch_execz .LBB54_138
; %bb.137:
	v_subrev_u32_e32 v1, s16, v18
	v_lshlrev_b32_e32 v1, 3, v1
	ds_write_b64 v1, v[4:5]
.LBB54_138:
	s_or_b64 exec, exec, s[2:3]
	v_cmp_gt_u32_e32 vcc, s33, v0
	s_waitcnt lgkmcnt(0)
	s_barrier
	s_and_saveexec_b64 s[2:3], vcc
	s_cbranch_execz .LBB54_141
; %bb.139:
	s_mov_b32 s17, 0
	s_lshl_b64 s[4:5], s[16:17], 3
	s_add_u32 s6, s26, s4
	s_addc_u32 s7, s27, s5
	s_lshl_b64 s[4:5], s[18:19], 3
	s_add_u32 s6, s6, s4
	s_addc_u32 s7, s7, s5
	v_lshlrev_b32_e32 v2, 3, v0
	s_mov_b64 s[4:5], 0
	v_mov_b32_e32 v1, 0
	v_mov_b32_e32 v3, s7
.LBB54_140:                             ; =>This Inner Loop Header: Depth=1
	ds_read_b64 v[4:5], v2
	v_lshlrev_b64 v[6:7], 3, v[0:1]
	v_add_co_u32_e32 v6, vcc, s6, v6
	v_add_u32_e32 v0, 0x80, v0
	v_addc_co_u32_e32 v7, vcc, v3, v7, vcc
	v_cmp_le_u32_e32 vcc, s33, v0
	v_add_u32_e32 v2, 0x400, v2
	s_or_b64 s[4:5], vcc, s[4:5]
	s_waitcnt lgkmcnt(0)
	global_store_dwordx2 v[6:7], v[4:5], off
	s_andn2_b64 exec, exec, s[4:5]
	s_cbranch_execnz .LBB54_140
.LBB54_141:
	s_or_b64 exec, exec, s[2:3]
	s_and_b64 s[0:1], s[0:1], s[22:23]
	s_and_saveexec_b64 s[2:3], s[0:1]
	s_cbranch_execz .LBB54_116
.LBB54_142:
	s_add_u32 s0, s18, s33
	s_addc_u32 s1, s19, 0
	s_add_u32 s0, s0, s16
	s_addc_u32 s1, s1, 0
	v_mov_b32_e32 v2, 0
	v_pk_mov_b32 v[0:1], s[0:1], s[0:1] op_sel:[0,1]
	global_store_dwordx2 v2, v[0:1], s[20:21]
	s_endpgm
	.section	.rodata,"a",@progbits
	.p2align	6, 0x0
	.amdhsa_kernel _ZN7rocprim17ROCPRIM_400000_NS6detail17trampoline_kernelINS0_14default_configENS1_25partition_config_selectorILNS1_17partition_subalgoE9EllbEEZZNS1_14partition_implILS5_9ELb0ES3_jPKlN6thrust23THRUST_200600_302600_NS17counting_iteratorIlNSB_11use_defaultESD_SD_EEPNS0_10empty_typeENS0_5tupleIJPlSF_EEENSH_IJSI_SG_EEENS0_18inequality_wrapperIN6hipcub16HIPCUB_304000_NS8EqualityEEESI_JSF_EEE10hipError_tPvRmT3_T4_T5_T6_T7_T9_mT8_P12ihipStream_tbDpT10_ENKUlT_T0_E_clISt17integral_constantIbLb1EES19_EEDaS14_S15_EUlS14_E_NS1_11comp_targetILNS1_3genE4ELNS1_11target_archE910ELNS1_3gpuE8ELNS1_3repE0EEENS1_30default_config_static_selectorELNS0_4arch9wavefront6targetE1EEEvT1_
		.amdhsa_group_segment_fixed_size 4232
		.amdhsa_private_segment_fixed_size 0
		.amdhsa_kernarg_size 128
		.amdhsa_user_sgpr_count 6
		.amdhsa_user_sgpr_private_segment_buffer 1
		.amdhsa_user_sgpr_dispatch_ptr 0
		.amdhsa_user_sgpr_queue_ptr 0
		.amdhsa_user_sgpr_kernarg_segment_ptr 1
		.amdhsa_user_sgpr_dispatch_id 0
		.amdhsa_user_sgpr_flat_scratch_init 0
		.amdhsa_user_sgpr_kernarg_preload_length 0
		.amdhsa_user_sgpr_kernarg_preload_offset 0
		.amdhsa_user_sgpr_private_segment_size 0
		.amdhsa_uses_dynamic_stack 0
		.amdhsa_system_sgpr_private_segment_wavefront_offset 0
		.amdhsa_system_sgpr_workgroup_id_x 1
		.amdhsa_system_sgpr_workgroup_id_y 0
		.amdhsa_system_sgpr_workgroup_id_z 0
		.amdhsa_system_sgpr_workgroup_info 0
		.amdhsa_system_vgpr_workitem_id 0
		.amdhsa_next_free_vgpr 50
		.amdhsa_next_free_sgpr 44
		.amdhsa_accum_offset 52
		.amdhsa_reserve_vcc 1
		.amdhsa_reserve_flat_scratch 0
		.amdhsa_float_round_mode_32 0
		.amdhsa_float_round_mode_16_64 0
		.amdhsa_float_denorm_mode_32 3
		.amdhsa_float_denorm_mode_16_64 3
		.amdhsa_dx10_clamp 1
		.amdhsa_ieee_mode 1
		.amdhsa_fp16_overflow 0
		.amdhsa_tg_split 0
		.amdhsa_exception_fp_ieee_invalid_op 0
		.amdhsa_exception_fp_denorm_src 0
		.amdhsa_exception_fp_ieee_div_zero 0
		.amdhsa_exception_fp_ieee_overflow 0
		.amdhsa_exception_fp_ieee_underflow 0
		.amdhsa_exception_fp_ieee_inexact 0
		.amdhsa_exception_int_div_zero 0
	.end_amdhsa_kernel
	.section	.text._ZN7rocprim17ROCPRIM_400000_NS6detail17trampoline_kernelINS0_14default_configENS1_25partition_config_selectorILNS1_17partition_subalgoE9EllbEEZZNS1_14partition_implILS5_9ELb0ES3_jPKlN6thrust23THRUST_200600_302600_NS17counting_iteratorIlNSB_11use_defaultESD_SD_EEPNS0_10empty_typeENS0_5tupleIJPlSF_EEENSH_IJSI_SG_EEENS0_18inequality_wrapperIN6hipcub16HIPCUB_304000_NS8EqualityEEESI_JSF_EEE10hipError_tPvRmT3_T4_T5_T6_T7_T9_mT8_P12ihipStream_tbDpT10_ENKUlT_T0_E_clISt17integral_constantIbLb1EES19_EEDaS14_S15_EUlS14_E_NS1_11comp_targetILNS1_3genE4ELNS1_11target_archE910ELNS1_3gpuE8ELNS1_3repE0EEENS1_30default_config_static_selectorELNS0_4arch9wavefront6targetE1EEEvT1_,"axG",@progbits,_ZN7rocprim17ROCPRIM_400000_NS6detail17trampoline_kernelINS0_14default_configENS1_25partition_config_selectorILNS1_17partition_subalgoE9EllbEEZZNS1_14partition_implILS5_9ELb0ES3_jPKlN6thrust23THRUST_200600_302600_NS17counting_iteratorIlNSB_11use_defaultESD_SD_EEPNS0_10empty_typeENS0_5tupleIJPlSF_EEENSH_IJSI_SG_EEENS0_18inequality_wrapperIN6hipcub16HIPCUB_304000_NS8EqualityEEESI_JSF_EEE10hipError_tPvRmT3_T4_T5_T6_T7_T9_mT8_P12ihipStream_tbDpT10_ENKUlT_T0_E_clISt17integral_constantIbLb1EES19_EEDaS14_S15_EUlS14_E_NS1_11comp_targetILNS1_3genE4ELNS1_11target_archE910ELNS1_3gpuE8ELNS1_3repE0EEENS1_30default_config_static_selectorELNS0_4arch9wavefront6targetE1EEEvT1_,comdat
.Lfunc_end54:
	.size	_ZN7rocprim17ROCPRIM_400000_NS6detail17trampoline_kernelINS0_14default_configENS1_25partition_config_selectorILNS1_17partition_subalgoE9EllbEEZZNS1_14partition_implILS5_9ELb0ES3_jPKlN6thrust23THRUST_200600_302600_NS17counting_iteratorIlNSB_11use_defaultESD_SD_EEPNS0_10empty_typeENS0_5tupleIJPlSF_EEENSH_IJSI_SG_EEENS0_18inequality_wrapperIN6hipcub16HIPCUB_304000_NS8EqualityEEESI_JSF_EEE10hipError_tPvRmT3_T4_T5_T6_T7_T9_mT8_P12ihipStream_tbDpT10_ENKUlT_T0_E_clISt17integral_constantIbLb1EES19_EEDaS14_S15_EUlS14_E_NS1_11comp_targetILNS1_3genE4ELNS1_11target_archE910ELNS1_3gpuE8ELNS1_3repE0EEENS1_30default_config_static_selectorELNS0_4arch9wavefront6targetE1EEEvT1_, .Lfunc_end54-_ZN7rocprim17ROCPRIM_400000_NS6detail17trampoline_kernelINS0_14default_configENS1_25partition_config_selectorILNS1_17partition_subalgoE9EllbEEZZNS1_14partition_implILS5_9ELb0ES3_jPKlN6thrust23THRUST_200600_302600_NS17counting_iteratorIlNSB_11use_defaultESD_SD_EEPNS0_10empty_typeENS0_5tupleIJPlSF_EEENSH_IJSI_SG_EEENS0_18inequality_wrapperIN6hipcub16HIPCUB_304000_NS8EqualityEEESI_JSF_EEE10hipError_tPvRmT3_T4_T5_T6_T7_T9_mT8_P12ihipStream_tbDpT10_ENKUlT_T0_E_clISt17integral_constantIbLb1EES19_EEDaS14_S15_EUlS14_E_NS1_11comp_targetILNS1_3genE4ELNS1_11target_archE910ELNS1_3gpuE8ELNS1_3repE0EEENS1_30default_config_static_selectorELNS0_4arch9wavefront6targetE1EEEvT1_
                                        ; -- End function
	.section	.AMDGPU.csdata,"",@progbits
; Kernel info:
; codeLenInByte = 5416
; NumSgprs: 48
; NumVgprs: 50
; NumAgprs: 0
; TotalNumVgprs: 50
; ScratchSize: 0
; MemoryBound: 0
; FloatMode: 240
; IeeeMode: 1
; LDSByteSize: 4232 bytes/workgroup (compile time only)
; SGPRBlocks: 5
; VGPRBlocks: 6
; NumSGPRsForWavesPerEU: 48
; NumVGPRsForWavesPerEU: 50
; AccumOffset: 52
; Occupancy: 8
; WaveLimiterHint : 1
; COMPUTE_PGM_RSRC2:SCRATCH_EN: 0
; COMPUTE_PGM_RSRC2:USER_SGPR: 6
; COMPUTE_PGM_RSRC2:TRAP_HANDLER: 0
; COMPUTE_PGM_RSRC2:TGID_X_EN: 1
; COMPUTE_PGM_RSRC2:TGID_Y_EN: 0
; COMPUTE_PGM_RSRC2:TGID_Z_EN: 0
; COMPUTE_PGM_RSRC2:TIDIG_COMP_CNT: 0
; COMPUTE_PGM_RSRC3_GFX90A:ACCUM_OFFSET: 12
; COMPUTE_PGM_RSRC3_GFX90A:TG_SPLIT: 0
	.section	.text._ZN7rocprim17ROCPRIM_400000_NS6detail17trampoline_kernelINS0_14default_configENS1_25partition_config_selectorILNS1_17partition_subalgoE9EllbEEZZNS1_14partition_implILS5_9ELb0ES3_jPKlN6thrust23THRUST_200600_302600_NS17counting_iteratorIlNSB_11use_defaultESD_SD_EEPNS0_10empty_typeENS0_5tupleIJPlSF_EEENSH_IJSI_SG_EEENS0_18inequality_wrapperIN6hipcub16HIPCUB_304000_NS8EqualityEEESI_JSF_EEE10hipError_tPvRmT3_T4_T5_T6_T7_T9_mT8_P12ihipStream_tbDpT10_ENKUlT_T0_E_clISt17integral_constantIbLb1EES19_EEDaS14_S15_EUlS14_E_NS1_11comp_targetILNS1_3genE3ELNS1_11target_archE908ELNS1_3gpuE7ELNS1_3repE0EEENS1_30default_config_static_selectorELNS0_4arch9wavefront6targetE1EEEvT1_,"axG",@progbits,_ZN7rocprim17ROCPRIM_400000_NS6detail17trampoline_kernelINS0_14default_configENS1_25partition_config_selectorILNS1_17partition_subalgoE9EllbEEZZNS1_14partition_implILS5_9ELb0ES3_jPKlN6thrust23THRUST_200600_302600_NS17counting_iteratorIlNSB_11use_defaultESD_SD_EEPNS0_10empty_typeENS0_5tupleIJPlSF_EEENSH_IJSI_SG_EEENS0_18inequality_wrapperIN6hipcub16HIPCUB_304000_NS8EqualityEEESI_JSF_EEE10hipError_tPvRmT3_T4_T5_T6_T7_T9_mT8_P12ihipStream_tbDpT10_ENKUlT_T0_E_clISt17integral_constantIbLb1EES19_EEDaS14_S15_EUlS14_E_NS1_11comp_targetILNS1_3genE3ELNS1_11target_archE908ELNS1_3gpuE7ELNS1_3repE0EEENS1_30default_config_static_selectorELNS0_4arch9wavefront6targetE1EEEvT1_,comdat
	.protected	_ZN7rocprim17ROCPRIM_400000_NS6detail17trampoline_kernelINS0_14default_configENS1_25partition_config_selectorILNS1_17partition_subalgoE9EllbEEZZNS1_14partition_implILS5_9ELb0ES3_jPKlN6thrust23THRUST_200600_302600_NS17counting_iteratorIlNSB_11use_defaultESD_SD_EEPNS0_10empty_typeENS0_5tupleIJPlSF_EEENSH_IJSI_SG_EEENS0_18inequality_wrapperIN6hipcub16HIPCUB_304000_NS8EqualityEEESI_JSF_EEE10hipError_tPvRmT3_T4_T5_T6_T7_T9_mT8_P12ihipStream_tbDpT10_ENKUlT_T0_E_clISt17integral_constantIbLb1EES19_EEDaS14_S15_EUlS14_E_NS1_11comp_targetILNS1_3genE3ELNS1_11target_archE908ELNS1_3gpuE7ELNS1_3repE0EEENS1_30default_config_static_selectorELNS0_4arch9wavefront6targetE1EEEvT1_ ; -- Begin function _ZN7rocprim17ROCPRIM_400000_NS6detail17trampoline_kernelINS0_14default_configENS1_25partition_config_selectorILNS1_17partition_subalgoE9EllbEEZZNS1_14partition_implILS5_9ELb0ES3_jPKlN6thrust23THRUST_200600_302600_NS17counting_iteratorIlNSB_11use_defaultESD_SD_EEPNS0_10empty_typeENS0_5tupleIJPlSF_EEENSH_IJSI_SG_EEENS0_18inequality_wrapperIN6hipcub16HIPCUB_304000_NS8EqualityEEESI_JSF_EEE10hipError_tPvRmT3_T4_T5_T6_T7_T9_mT8_P12ihipStream_tbDpT10_ENKUlT_T0_E_clISt17integral_constantIbLb1EES19_EEDaS14_S15_EUlS14_E_NS1_11comp_targetILNS1_3genE3ELNS1_11target_archE908ELNS1_3gpuE7ELNS1_3repE0EEENS1_30default_config_static_selectorELNS0_4arch9wavefront6targetE1EEEvT1_
	.globl	_ZN7rocprim17ROCPRIM_400000_NS6detail17trampoline_kernelINS0_14default_configENS1_25partition_config_selectorILNS1_17partition_subalgoE9EllbEEZZNS1_14partition_implILS5_9ELb0ES3_jPKlN6thrust23THRUST_200600_302600_NS17counting_iteratorIlNSB_11use_defaultESD_SD_EEPNS0_10empty_typeENS0_5tupleIJPlSF_EEENSH_IJSI_SG_EEENS0_18inequality_wrapperIN6hipcub16HIPCUB_304000_NS8EqualityEEESI_JSF_EEE10hipError_tPvRmT3_T4_T5_T6_T7_T9_mT8_P12ihipStream_tbDpT10_ENKUlT_T0_E_clISt17integral_constantIbLb1EES19_EEDaS14_S15_EUlS14_E_NS1_11comp_targetILNS1_3genE3ELNS1_11target_archE908ELNS1_3gpuE7ELNS1_3repE0EEENS1_30default_config_static_selectorELNS0_4arch9wavefront6targetE1EEEvT1_
	.p2align	8
	.type	_ZN7rocprim17ROCPRIM_400000_NS6detail17trampoline_kernelINS0_14default_configENS1_25partition_config_selectorILNS1_17partition_subalgoE9EllbEEZZNS1_14partition_implILS5_9ELb0ES3_jPKlN6thrust23THRUST_200600_302600_NS17counting_iteratorIlNSB_11use_defaultESD_SD_EEPNS0_10empty_typeENS0_5tupleIJPlSF_EEENSH_IJSI_SG_EEENS0_18inequality_wrapperIN6hipcub16HIPCUB_304000_NS8EqualityEEESI_JSF_EEE10hipError_tPvRmT3_T4_T5_T6_T7_T9_mT8_P12ihipStream_tbDpT10_ENKUlT_T0_E_clISt17integral_constantIbLb1EES19_EEDaS14_S15_EUlS14_E_NS1_11comp_targetILNS1_3genE3ELNS1_11target_archE908ELNS1_3gpuE7ELNS1_3repE0EEENS1_30default_config_static_selectorELNS0_4arch9wavefront6targetE1EEEvT1_,@function
_ZN7rocprim17ROCPRIM_400000_NS6detail17trampoline_kernelINS0_14default_configENS1_25partition_config_selectorILNS1_17partition_subalgoE9EllbEEZZNS1_14partition_implILS5_9ELb0ES3_jPKlN6thrust23THRUST_200600_302600_NS17counting_iteratorIlNSB_11use_defaultESD_SD_EEPNS0_10empty_typeENS0_5tupleIJPlSF_EEENSH_IJSI_SG_EEENS0_18inequality_wrapperIN6hipcub16HIPCUB_304000_NS8EqualityEEESI_JSF_EEE10hipError_tPvRmT3_T4_T5_T6_T7_T9_mT8_P12ihipStream_tbDpT10_ENKUlT_T0_E_clISt17integral_constantIbLb1EES19_EEDaS14_S15_EUlS14_E_NS1_11comp_targetILNS1_3genE3ELNS1_11target_archE908ELNS1_3gpuE7ELNS1_3repE0EEENS1_30default_config_static_selectorELNS0_4arch9wavefront6targetE1EEEvT1_: ; @_ZN7rocprim17ROCPRIM_400000_NS6detail17trampoline_kernelINS0_14default_configENS1_25partition_config_selectorILNS1_17partition_subalgoE9EllbEEZZNS1_14partition_implILS5_9ELb0ES3_jPKlN6thrust23THRUST_200600_302600_NS17counting_iteratorIlNSB_11use_defaultESD_SD_EEPNS0_10empty_typeENS0_5tupleIJPlSF_EEENSH_IJSI_SG_EEENS0_18inequality_wrapperIN6hipcub16HIPCUB_304000_NS8EqualityEEESI_JSF_EEE10hipError_tPvRmT3_T4_T5_T6_T7_T9_mT8_P12ihipStream_tbDpT10_ENKUlT_T0_E_clISt17integral_constantIbLb1EES19_EEDaS14_S15_EUlS14_E_NS1_11comp_targetILNS1_3genE3ELNS1_11target_archE908ELNS1_3gpuE7ELNS1_3repE0EEENS1_30default_config_static_selectorELNS0_4arch9wavefront6targetE1EEEvT1_
; %bb.0:
	.section	.rodata,"a",@progbits
	.p2align	6, 0x0
	.amdhsa_kernel _ZN7rocprim17ROCPRIM_400000_NS6detail17trampoline_kernelINS0_14default_configENS1_25partition_config_selectorILNS1_17partition_subalgoE9EllbEEZZNS1_14partition_implILS5_9ELb0ES3_jPKlN6thrust23THRUST_200600_302600_NS17counting_iteratorIlNSB_11use_defaultESD_SD_EEPNS0_10empty_typeENS0_5tupleIJPlSF_EEENSH_IJSI_SG_EEENS0_18inequality_wrapperIN6hipcub16HIPCUB_304000_NS8EqualityEEESI_JSF_EEE10hipError_tPvRmT3_T4_T5_T6_T7_T9_mT8_P12ihipStream_tbDpT10_ENKUlT_T0_E_clISt17integral_constantIbLb1EES19_EEDaS14_S15_EUlS14_E_NS1_11comp_targetILNS1_3genE3ELNS1_11target_archE908ELNS1_3gpuE7ELNS1_3repE0EEENS1_30default_config_static_selectorELNS0_4arch9wavefront6targetE1EEEvT1_
		.amdhsa_group_segment_fixed_size 0
		.amdhsa_private_segment_fixed_size 0
		.amdhsa_kernarg_size 128
		.amdhsa_user_sgpr_count 6
		.amdhsa_user_sgpr_private_segment_buffer 1
		.amdhsa_user_sgpr_dispatch_ptr 0
		.amdhsa_user_sgpr_queue_ptr 0
		.amdhsa_user_sgpr_kernarg_segment_ptr 1
		.amdhsa_user_sgpr_dispatch_id 0
		.amdhsa_user_sgpr_flat_scratch_init 0
		.amdhsa_user_sgpr_kernarg_preload_length 0
		.amdhsa_user_sgpr_kernarg_preload_offset 0
		.amdhsa_user_sgpr_private_segment_size 0
		.amdhsa_uses_dynamic_stack 0
		.amdhsa_system_sgpr_private_segment_wavefront_offset 0
		.amdhsa_system_sgpr_workgroup_id_x 1
		.amdhsa_system_sgpr_workgroup_id_y 0
		.amdhsa_system_sgpr_workgroup_id_z 0
		.amdhsa_system_sgpr_workgroup_info 0
		.amdhsa_system_vgpr_workitem_id 0
		.amdhsa_next_free_vgpr 1
		.amdhsa_next_free_sgpr 0
		.amdhsa_accum_offset 4
		.amdhsa_reserve_vcc 0
		.amdhsa_reserve_flat_scratch 0
		.amdhsa_float_round_mode_32 0
		.amdhsa_float_round_mode_16_64 0
		.amdhsa_float_denorm_mode_32 3
		.amdhsa_float_denorm_mode_16_64 3
		.amdhsa_dx10_clamp 1
		.amdhsa_ieee_mode 1
		.amdhsa_fp16_overflow 0
		.amdhsa_tg_split 0
		.amdhsa_exception_fp_ieee_invalid_op 0
		.amdhsa_exception_fp_denorm_src 0
		.amdhsa_exception_fp_ieee_div_zero 0
		.amdhsa_exception_fp_ieee_overflow 0
		.amdhsa_exception_fp_ieee_underflow 0
		.amdhsa_exception_fp_ieee_inexact 0
		.amdhsa_exception_int_div_zero 0
	.end_amdhsa_kernel
	.section	.text._ZN7rocprim17ROCPRIM_400000_NS6detail17trampoline_kernelINS0_14default_configENS1_25partition_config_selectorILNS1_17partition_subalgoE9EllbEEZZNS1_14partition_implILS5_9ELb0ES3_jPKlN6thrust23THRUST_200600_302600_NS17counting_iteratorIlNSB_11use_defaultESD_SD_EEPNS0_10empty_typeENS0_5tupleIJPlSF_EEENSH_IJSI_SG_EEENS0_18inequality_wrapperIN6hipcub16HIPCUB_304000_NS8EqualityEEESI_JSF_EEE10hipError_tPvRmT3_T4_T5_T6_T7_T9_mT8_P12ihipStream_tbDpT10_ENKUlT_T0_E_clISt17integral_constantIbLb1EES19_EEDaS14_S15_EUlS14_E_NS1_11comp_targetILNS1_3genE3ELNS1_11target_archE908ELNS1_3gpuE7ELNS1_3repE0EEENS1_30default_config_static_selectorELNS0_4arch9wavefront6targetE1EEEvT1_,"axG",@progbits,_ZN7rocprim17ROCPRIM_400000_NS6detail17trampoline_kernelINS0_14default_configENS1_25partition_config_selectorILNS1_17partition_subalgoE9EllbEEZZNS1_14partition_implILS5_9ELb0ES3_jPKlN6thrust23THRUST_200600_302600_NS17counting_iteratorIlNSB_11use_defaultESD_SD_EEPNS0_10empty_typeENS0_5tupleIJPlSF_EEENSH_IJSI_SG_EEENS0_18inequality_wrapperIN6hipcub16HIPCUB_304000_NS8EqualityEEESI_JSF_EEE10hipError_tPvRmT3_T4_T5_T6_T7_T9_mT8_P12ihipStream_tbDpT10_ENKUlT_T0_E_clISt17integral_constantIbLb1EES19_EEDaS14_S15_EUlS14_E_NS1_11comp_targetILNS1_3genE3ELNS1_11target_archE908ELNS1_3gpuE7ELNS1_3repE0EEENS1_30default_config_static_selectorELNS0_4arch9wavefront6targetE1EEEvT1_,comdat
.Lfunc_end55:
	.size	_ZN7rocprim17ROCPRIM_400000_NS6detail17trampoline_kernelINS0_14default_configENS1_25partition_config_selectorILNS1_17partition_subalgoE9EllbEEZZNS1_14partition_implILS5_9ELb0ES3_jPKlN6thrust23THRUST_200600_302600_NS17counting_iteratorIlNSB_11use_defaultESD_SD_EEPNS0_10empty_typeENS0_5tupleIJPlSF_EEENSH_IJSI_SG_EEENS0_18inequality_wrapperIN6hipcub16HIPCUB_304000_NS8EqualityEEESI_JSF_EEE10hipError_tPvRmT3_T4_T5_T6_T7_T9_mT8_P12ihipStream_tbDpT10_ENKUlT_T0_E_clISt17integral_constantIbLb1EES19_EEDaS14_S15_EUlS14_E_NS1_11comp_targetILNS1_3genE3ELNS1_11target_archE908ELNS1_3gpuE7ELNS1_3repE0EEENS1_30default_config_static_selectorELNS0_4arch9wavefront6targetE1EEEvT1_, .Lfunc_end55-_ZN7rocprim17ROCPRIM_400000_NS6detail17trampoline_kernelINS0_14default_configENS1_25partition_config_selectorILNS1_17partition_subalgoE9EllbEEZZNS1_14partition_implILS5_9ELb0ES3_jPKlN6thrust23THRUST_200600_302600_NS17counting_iteratorIlNSB_11use_defaultESD_SD_EEPNS0_10empty_typeENS0_5tupleIJPlSF_EEENSH_IJSI_SG_EEENS0_18inequality_wrapperIN6hipcub16HIPCUB_304000_NS8EqualityEEESI_JSF_EEE10hipError_tPvRmT3_T4_T5_T6_T7_T9_mT8_P12ihipStream_tbDpT10_ENKUlT_T0_E_clISt17integral_constantIbLb1EES19_EEDaS14_S15_EUlS14_E_NS1_11comp_targetILNS1_3genE3ELNS1_11target_archE908ELNS1_3gpuE7ELNS1_3repE0EEENS1_30default_config_static_selectorELNS0_4arch9wavefront6targetE1EEEvT1_
                                        ; -- End function
	.section	.AMDGPU.csdata,"",@progbits
; Kernel info:
; codeLenInByte = 0
; NumSgprs: 4
; NumVgprs: 0
; NumAgprs: 0
; TotalNumVgprs: 0
; ScratchSize: 0
; MemoryBound: 0
; FloatMode: 240
; IeeeMode: 1
; LDSByteSize: 0 bytes/workgroup (compile time only)
; SGPRBlocks: 0
; VGPRBlocks: 0
; NumSGPRsForWavesPerEU: 4
; NumVGPRsForWavesPerEU: 1
; AccumOffset: 4
; Occupancy: 8
; WaveLimiterHint : 0
; COMPUTE_PGM_RSRC2:SCRATCH_EN: 0
; COMPUTE_PGM_RSRC2:USER_SGPR: 6
; COMPUTE_PGM_RSRC2:TRAP_HANDLER: 0
; COMPUTE_PGM_RSRC2:TGID_X_EN: 1
; COMPUTE_PGM_RSRC2:TGID_Y_EN: 0
; COMPUTE_PGM_RSRC2:TGID_Z_EN: 0
; COMPUTE_PGM_RSRC2:TIDIG_COMP_CNT: 0
; COMPUTE_PGM_RSRC3_GFX90A:ACCUM_OFFSET: 0
; COMPUTE_PGM_RSRC3_GFX90A:TG_SPLIT: 0
	.section	.text._ZN7rocprim17ROCPRIM_400000_NS6detail17trampoline_kernelINS0_14default_configENS1_25partition_config_selectorILNS1_17partition_subalgoE9EllbEEZZNS1_14partition_implILS5_9ELb0ES3_jPKlN6thrust23THRUST_200600_302600_NS17counting_iteratorIlNSB_11use_defaultESD_SD_EEPNS0_10empty_typeENS0_5tupleIJPlSF_EEENSH_IJSI_SG_EEENS0_18inequality_wrapperIN6hipcub16HIPCUB_304000_NS8EqualityEEESI_JSF_EEE10hipError_tPvRmT3_T4_T5_T6_T7_T9_mT8_P12ihipStream_tbDpT10_ENKUlT_T0_E_clISt17integral_constantIbLb1EES19_EEDaS14_S15_EUlS14_E_NS1_11comp_targetILNS1_3genE2ELNS1_11target_archE906ELNS1_3gpuE6ELNS1_3repE0EEENS1_30default_config_static_selectorELNS0_4arch9wavefront6targetE1EEEvT1_,"axG",@progbits,_ZN7rocprim17ROCPRIM_400000_NS6detail17trampoline_kernelINS0_14default_configENS1_25partition_config_selectorILNS1_17partition_subalgoE9EllbEEZZNS1_14partition_implILS5_9ELb0ES3_jPKlN6thrust23THRUST_200600_302600_NS17counting_iteratorIlNSB_11use_defaultESD_SD_EEPNS0_10empty_typeENS0_5tupleIJPlSF_EEENSH_IJSI_SG_EEENS0_18inequality_wrapperIN6hipcub16HIPCUB_304000_NS8EqualityEEESI_JSF_EEE10hipError_tPvRmT3_T4_T5_T6_T7_T9_mT8_P12ihipStream_tbDpT10_ENKUlT_T0_E_clISt17integral_constantIbLb1EES19_EEDaS14_S15_EUlS14_E_NS1_11comp_targetILNS1_3genE2ELNS1_11target_archE906ELNS1_3gpuE6ELNS1_3repE0EEENS1_30default_config_static_selectorELNS0_4arch9wavefront6targetE1EEEvT1_,comdat
	.protected	_ZN7rocprim17ROCPRIM_400000_NS6detail17trampoline_kernelINS0_14default_configENS1_25partition_config_selectorILNS1_17partition_subalgoE9EllbEEZZNS1_14partition_implILS5_9ELb0ES3_jPKlN6thrust23THRUST_200600_302600_NS17counting_iteratorIlNSB_11use_defaultESD_SD_EEPNS0_10empty_typeENS0_5tupleIJPlSF_EEENSH_IJSI_SG_EEENS0_18inequality_wrapperIN6hipcub16HIPCUB_304000_NS8EqualityEEESI_JSF_EEE10hipError_tPvRmT3_T4_T5_T6_T7_T9_mT8_P12ihipStream_tbDpT10_ENKUlT_T0_E_clISt17integral_constantIbLb1EES19_EEDaS14_S15_EUlS14_E_NS1_11comp_targetILNS1_3genE2ELNS1_11target_archE906ELNS1_3gpuE6ELNS1_3repE0EEENS1_30default_config_static_selectorELNS0_4arch9wavefront6targetE1EEEvT1_ ; -- Begin function _ZN7rocprim17ROCPRIM_400000_NS6detail17trampoline_kernelINS0_14default_configENS1_25partition_config_selectorILNS1_17partition_subalgoE9EllbEEZZNS1_14partition_implILS5_9ELb0ES3_jPKlN6thrust23THRUST_200600_302600_NS17counting_iteratorIlNSB_11use_defaultESD_SD_EEPNS0_10empty_typeENS0_5tupleIJPlSF_EEENSH_IJSI_SG_EEENS0_18inequality_wrapperIN6hipcub16HIPCUB_304000_NS8EqualityEEESI_JSF_EEE10hipError_tPvRmT3_T4_T5_T6_T7_T9_mT8_P12ihipStream_tbDpT10_ENKUlT_T0_E_clISt17integral_constantIbLb1EES19_EEDaS14_S15_EUlS14_E_NS1_11comp_targetILNS1_3genE2ELNS1_11target_archE906ELNS1_3gpuE6ELNS1_3repE0EEENS1_30default_config_static_selectorELNS0_4arch9wavefront6targetE1EEEvT1_
	.globl	_ZN7rocprim17ROCPRIM_400000_NS6detail17trampoline_kernelINS0_14default_configENS1_25partition_config_selectorILNS1_17partition_subalgoE9EllbEEZZNS1_14partition_implILS5_9ELb0ES3_jPKlN6thrust23THRUST_200600_302600_NS17counting_iteratorIlNSB_11use_defaultESD_SD_EEPNS0_10empty_typeENS0_5tupleIJPlSF_EEENSH_IJSI_SG_EEENS0_18inequality_wrapperIN6hipcub16HIPCUB_304000_NS8EqualityEEESI_JSF_EEE10hipError_tPvRmT3_T4_T5_T6_T7_T9_mT8_P12ihipStream_tbDpT10_ENKUlT_T0_E_clISt17integral_constantIbLb1EES19_EEDaS14_S15_EUlS14_E_NS1_11comp_targetILNS1_3genE2ELNS1_11target_archE906ELNS1_3gpuE6ELNS1_3repE0EEENS1_30default_config_static_selectorELNS0_4arch9wavefront6targetE1EEEvT1_
	.p2align	8
	.type	_ZN7rocprim17ROCPRIM_400000_NS6detail17trampoline_kernelINS0_14default_configENS1_25partition_config_selectorILNS1_17partition_subalgoE9EllbEEZZNS1_14partition_implILS5_9ELb0ES3_jPKlN6thrust23THRUST_200600_302600_NS17counting_iteratorIlNSB_11use_defaultESD_SD_EEPNS0_10empty_typeENS0_5tupleIJPlSF_EEENSH_IJSI_SG_EEENS0_18inequality_wrapperIN6hipcub16HIPCUB_304000_NS8EqualityEEESI_JSF_EEE10hipError_tPvRmT3_T4_T5_T6_T7_T9_mT8_P12ihipStream_tbDpT10_ENKUlT_T0_E_clISt17integral_constantIbLb1EES19_EEDaS14_S15_EUlS14_E_NS1_11comp_targetILNS1_3genE2ELNS1_11target_archE906ELNS1_3gpuE6ELNS1_3repE0EEENS1_30default_config_static_selectorELNS0_4arch9wavefront6targetE1EEEvT1_,@function
_ZN7rocprim17ROCPRIM_400000_NS6detail17trampoline_kernelINS0_14default_configENS1_25partition_config_selectorILNS1_17partition_subalgoE9EllbEEZZNS1_14partition_implILS5_9ELb0ES3_jPKlN6thrust23THRUST_200600_302600_NS17counting_iteratorIlNSB_11use_defaultESD_SD_EEPNS0_10empty_typeENS0_5tupleIJPlSF_EEENSH_IJSI_SG_EEENS0_18inequality_wrapperIN6hipcub16HIPCUB_304000_NS8EqualityEEESI_JSF_EEE10hipError_tPvRmT3_T4_T5_T6_T7_T9_mT8_P12ihipStream_tbDpT10_ENKUlT_T0_E_clISt17integral_constantIbLb1EES19_EEDaS14_S15_EUlS14_E_NS1_11comp_targetILNS1_3genE2ELNS1_11target_archE906ELNS1_3gpuE6ELNS1_3repE0EEENS1_30default_config_static_selectorELNS0_4arch9wavefront6targetE1EEEvT1_: ; @_ZN7rocprim17ROCPRIM_400000_NS6detail17trampoline_kernelINS0_14default_configENS1_25partition_config_selectorILNS1_17partition_subalgoE9EllbEEZZNS1_14partition_implILS5_9ELb0ES3_jPKlN6thrust23THRUST_200600_302600_NS17counting_iteratorIlNSB_11use_defaultESD_SD_EEPNS0_10empty_typeENS0_5tupleIJPlSF_EEENSH_IJSI_SG_EEENS0_18inequality_wrapperIN6hipcub16HIPCUB_304000_NS8EqualityEEESI_JSF_EEE10hipError_tPvRmT3_T4_T5_T6_T7_T9_mT8_P12ihipStream_tbDpT10_ENKUlT_T0_E_clISt17integral_constantIbLb1EES19_EEDaS14_S15_EUlS14_E_NS1_11comp_targetILNS1_3genE2ELNS1_11target_archE906ELNS1_3gpuE6ELNS1_3repE0EEENS1_30default_config_static_selectorELNS0_4arch9wavefront6targetE1EEEvT1_
; %bb.0:
	.section	.rodata,"a",@progbits
	.p2align	6, 0x0
	.amdhsa_kernel _ZN7rocprim17ROCPRIM_400000_NS6detail17trampoline_kernelINS0_14default_configENS1_25partition_config_selectorILNS1_17partition_subalgoE9EllbEEZZNS1_14partition_implILS5_9ELb0ES3_jPKlN6thrust23THRUST_200600_302600_NS17counting_iteratorIlNSB_11use_defaultESD_SD_EEPNS0_10empty_typeENS0_5tupleIJPlSF_EEENSH_IJSI_SG_EEENS0_18inequality_wrapperIN6hipcub16HIPCUB_304000_NS8EqualityEEESI_JSF_EEE10hipError_tPvRmT3_T4_T5_T6_T7_T9_mT8_P12ihipStream_tbDpT10_ENKUlT_T0_E_clISt17integral_constantIbLb1EES19_EEDaS14_S15_EUlS14_E_NS1_11comp_targetILNS1_3genE2ELNS1_11target_archE906ELNS1_3gpuE6ELNS1_3repE0EEENS1_30default_config_static_selectorELNS0_4arch9wavefront6targetE1EEEvT1_
		.amdhsa_group_segment_fixed_size 0
		.amdhsa_private_segment_fixed_size 0
		.amdhsa_kernarg_size 128
		.amdhsa_user_sgpr_count 6
		.amdhsa_user_sgpr_private_segment_buffer 1
		.amdhsa_user_sgpr_dispatch_ptr 0
		.amdhsa_user_sgpr_queue_ptr 0
		.amdhsa_user_sgpr_kernarg_segment_ptr 1
		.amdhsa_user_sgpr_dispatch_id 0
		.amdhsa_user_sgpr_flat_scratch_init 0
		.amdhsa_user_sgpr_kernarg_preload_length 0
		.amdhsa_user_sgpr_kernarg_preload_offset 0
		.amdhsa_user_sgpr_private_segment_size 0
		.amdhsa_uses_dynamic_stack 0
		.amdhsa_system_sgpr_private_segment_wavefront_offset 0
		.amdhsa_system_sgpr_workgroup_id_x 1
		.amdhsa_system_sgpr_workgroup_id_y 0
		.amdhsa_system_sgpr_workgroup_id_z 0
		.amdhsa_system_sgpr_workgroup_info 0
		.amdhsa_system_vgpr_workitem_id 0
		.amdhsa_next_free_vgpr 1
		.amdhsa_next_free_sgpr 0
		.amdhsa_accum_offset 4
		.amdhsa_reserve_vcc 0
		.amdhsa_reserve_flat_scratch 0
		.amdhsa_float_round_mode_32 0
		.amdhsa_float_round_mode_16_64 0
		.amdhsa_float_denorm_mode_32 3
		.amdhsa_float_denorm_mode_16_64 3
		.amdhsa_dx10_clamp 1
		.amdhsa_ieee_mode 1
		.amdhsa_fp16_overflow 0
		.amdhsa_tg_split 0
		.amdhsa_exception_fp_ieee_invalid_op 0
		.amdhsa_exception_fp_denorm_src 0
		.amdhsa_exception_fp_ieee_div_zero 0
		.amdhsa_exception_fp_ieee_overflow 0
		.amdhsa_exception_fp_ieee_underflow 0
		.amdhsa_exception_fp_ieee_inexact 0
		.amdhsa_exception_int_div_zero 0
	.end_amdhsa_kernel
	.section	.text._ZN7rocprim17ROCPRIM_400000_NS6detail17trampoline_kernelINS0_14default_configENS1_25partition_config_selectorILNS1_17partition_subalgoE9EllbEEZZNS1_14partition_implILS5_9ELb0ES3_jPKlN6thrust23THRUST_200600_302600_NS17counting_iteratorIlNSB_11use_defaultESD_SD_EEPNS0_10empty_typeENS0_5tupleIJPlSF_EEENSH_IJSI_SG_EEENS0_18inequality_wrapperIN6hipcub16HIPCUB_304000_NS8EqualityEEESI_JSF_EEE10hipError_tPvRmT3_T4_T5_T6_T7_T9_mT8_P12ihipStream_tbDpT10_ENKUlT_T0_E_clISt17integral_constantIbLb1EES19_EEDaS14_S15_EUlS14_E_NS1_11comp_targetILNS1_3genE2ELNS1_11target_archE906ELNS1_3gpuE6ELNS1_3repE0EEENS1_30default_config_static_selectorELNS0_4arch9wavefront6targetE1EEEvT1_,"axG",@progbits,_ZN7rocprim17ROCPRIM_400000_NS6detail17trampoline_kernelINS0_14default_configENS1_25partition_config_selectorILNS1_17partition_subalgoE9EllbEEZZNS1_14partition_implILS5_9ELb0ES3_jPKlN6thrust23THRUST_200600_302600_NS17counting_iteratorIlNSB_11use_defaultESD_SD_EEPNS0_10empty_typeENS0_5tupleIJPlSF_EEENSH_IJSI_SG_EEENS0_18inequality_wrapperIN6hipcub16HIPCUB_304000_NS8EqualityEEESI_JSF_EEE10hipError_tPvRmT3_T4_T5_T6_T7_T9_mT8_P12ihipStream_tbDpT10_ENKUlT_T0_E_clISt17integral_constantIbLb1EES19_EEDaS14_S15_EUlS14_E_NS1_11comp_targetILNS1_3genE2ELNS1_11target_archE906ELNS1_3gpuE6ELNS1_3repE0EEENS1_30default_config_static_selectorELNS0_4arch9wavefront6targetE1EEEvT1_,comdat
.Lfunc_end56:
	.size	_ZN7rocprim17ROCPRIM_400000_NS6detail17trampoline_kernelINS0_14default_configENS1_25partition_config_selectorILNS1_17partition_subalgoE9EllbEEZZNS1_14partition_implILS5_9ELb0ES3_jPKlN6thrust23THRUST_200600_302600_NS17counting_iteratorIlNSB_11use_defaultESD_SD_EEPNS0_10empty_typeENS0_5tupleIJPlSF_EEENSH_IJSI_SG_EEENS0_18inequality_wrapperIN6hipcub16HIPCUB_304000_NS8EqualityEEESI_JSF_EEE10hipError_tPvRmT3_T4_T5_T6_T7_T9_mT8_P12ihipStream_tbDpT10_ENKUlT_T0_E_clISt17integral_constantIbLb1EES19_EEDaS14_S15_EUlS14_E_NS1_11comp_targetILNS1_3genE2ELNS1_11target_archE906ELNS1_3gpuE6ELNS1_3repE0EEENS1_30default_config_static_selectorELNS0_4arch9wavefront6targetE1EEEvT1_, .Lfunc_end56-_ZN7rocprim17ROCPRIM_400000_NS6detail17trampoline_kernelINS0_14default_configENS1_25partition_config_selectorILNS1_17partition_subalgoE9EllbEEZZNS1_14partition_implILS5_9ELb0ES3_jPKlN6thrust23THRUST_200600_302600_NS17counting_iteratorIlNSB_11use_defaultESD_SD_EEPNS0_10empty_typeENS0_5tupleIJPlSF_EEENSH_IJSI_SG_EEENS0_18inequality_wrapperIN6hipcub16HIPCUB_304000_NS8EqualityEEESI_JSF_EEE10hipError_tPvRmT3_T4_T5_T6_T7_T9_mT8_P12ihipStream_tbDpT10_ENKUlT_T0_E_clISt17integral_constantIbLb1EES19_EEDaS14_S15_EUlS14_E_NS1_11comp_targetILNS1_3genE2ELNS1_11target_archE906ELNS1_3gpuE6ELNS1_3repE0EEENS1_30default_config_static_selectorELNS0_4arch9wavefront6targetE1EEEvT1_
                                        ; -- End function
	.section	.AMDGPU.csdata,"",@progbits
; Kernel info:
; codeLenInByte = 0
; NumSgprs: 4
; NumVgprs: 0
; NumAgprs: 0
; TotalNumVgprs: 0
; ScratchSize: 0
; MemoryBound: 0
; FloatMode: 240
; IeeeMode: 1
; LDSByteSize: 0 bytes/workgroup (compile time only)
; SGPRBlocks: 0
; VGPRBlocks: 0
; NumSGPRsForWavesPerEU: 4
; NumVGPRsForWavesPerEU: 1
; AccumOffset: 4
; Occupancy: 8
; WaveLimiterHint : 0
; COMPUTE_PGM_RSRC2:SCRATCH_EN: 0
; COMPUTE_PGM_RSRC2:USER_SGPR: 6
; COMPUTE_PGM_RSRC2:TRAP_HANDLER: 0
; COMPUTE_PGM_RSRC2:TGID_X_EN: 1
; COMPUTE_PGM_RSRC2:TGID_Y_EN: 0
; COMPUTE_PGM_RSRC2:TGID_Z_EN: 0
; COMPUTE_PGM_RSRC2:TIDIG_COMP_CNT: 0
; COMPUTE_PGM_RSRC3_GFX90A:ACCUM_OFFSET: 0
; COMPUTE_PGM_RSRC3_GFX90A:TG_SPLIT: 0
	.section	.text._ZN7rocprim17ROCPRIM_400000_NS6detail17trampoline_kernelINS0_14default_configENS1_25partition_config_selectorILNS1_17partition_subalgoE9EllbEEZZNS1_14partition_implILS5_9ELb0ES3_jPKlN6thrust23THRUST_200600_302600_NS17counting_iteratorIlNSB_11use_defaultESD_SD_EEPNS0_10empty_typeENS0_5tupleIJPlSF_EEENSH_IJSI_SG_EEENS0_18inequality_wrapperIN6hipcub16HIPCUB_304000_NS8EqualityEEESI_JSF_EEE10hipError_tPvRmT3_T4_T5_T6_T7_T9_mT8_P12ihipStream_tbDpT10_ENKUlT_T0_E_clISt17integral_constantIbLb1EES19_EEDaS14_S15_EUlS14_E_NS1_11comp_targetILNS1_3genE10ELNS1_11target_archE1200ELNS1_3gpuE4ELNS1_3repE0EEENS1_30default_config_static_selectorELNS0_4arch9wavefront6targetE1EEEvT1_,"axG",@progbits,_ZN7rocprim17ROCPRIM_400000_NS6detail17trampoline_kernelINS0_14default_configENS1_25partition_config_selectorILNS1_17partition_subalgoE9EllbEEZZNS1_14partition_implILS5_9ELb0ES3_jPKlN6thrust23THRUST_200600_302600_NS17counting_iteratorIlNSB_11use_defaultESD_SD_EEPNS0_10empty_typeENS0_5tupleIJPlSF_EEENSH_IJSI_SG_EEENS0_18inequality_wrapperIN6hipcub16HIPCUB_304000_NS8EqualityEEESI_JSF_EEE10hipError_tPvRmT3_T4_T5_T6_T7_T9_mT8_P12ihipStream_tbDpT10_ENKUlT_T0_E_clISt17integral_constantIbLb1EES19_EEDaS14_S15_EUlS14_E_NS1_11comp_targetILNS1_3genE10ELNS1_11target_archE1200ELNS1_3gpuE4ELNS1_3repE0EEENS1_30default_config_static_selectorELNS0_4arch9wavefront6targetE1EEEvT1_,comdat
	.protected	_ZN7rocprim17ROCPRIM_400000_NS6detail17trampoline_kernelINS0_14default_configENS1_25partition_config_selectorILNS1_17partition_subalgoE9EllbEEZZNS1_14partition_implILS5_9ELb0ES3_jPKlN6thrust23THRUST_200600_302600_NS17counting_iteratorIlNSB_11use_defaultESD_SD_EEPNS0_10empty_typeENS0_5tupleIJPlSF_EEENSH_IJSI_SG_EEENS0_18inequality_wrapperIN6hipcub16HIPCUB_304000_NS8EqualityEEESI_JSF_EEE10hipError_tPvRmT3_T4_T5_T6_T7_T9_mT8_P12ihipStream_tbDpT10_ENKUlT_T0_E_clISt17integral_constantIbLb1EES19_EEDaS14_S15_EUlS14_E_NS1_11comp_targetILNS1_3genE10ELNS1_11target_archE1200ELNS1_3gpuE4ELNS1_3repE0EEENS1_30default_config_static_selectorELNS0_4arch9wavefront6targetE1EEEvT1_ ; -- Begin function _ZN7rocprim17ROCPRIM_400000_NS6detail17trampoline_kernelINS0_14default_configENS1_25partition_config_selectorILNS1_17partition_subalgoE9EllbEEZZNS1_14partition_implILS5_9ELb0ES3_jPKlN6thrust23THRUST_200600_302600_NS17counting_iteratorIlNSB_11use_defaultESD_SD_EEPNS0_10empty_typeENS0_5tupleIJPlSF_EEENSH_IJSI_SG_EEENS0_18inequality_wrapperIN6hipcub16HIPCUB_304000_NS8EqualityEEESI_JSF_EEE10hipError_tPvRmT3_T4_T5_T6_T7_T9_mT8_P12ihipStream_tbDpT10_ENKUlT_T0_E_clISt17integral_constantIbLb1EES19_EEDaS14_S15_EUlS14_E_NS1_11comp_targetILNS1_3genE10ELNS1_11target_archE1200ELNS1_3gpuE4ELNS1_3repE0EEENS1_30default_config_static_selectorELNS0_4arch9wavefront6targetE1EEEvT1_
	.globl	_ZN7rocprim17ROCPRIM_400000_NS6detail17trampoline_kernelINS0_14default_configENS1_25partition_config_selectorILNS1_17partition_subalgoE9EllbEEZZNS1_14partition_implILS5_9ELb0ES3_jPKlN6thrust23THRUST_200600_302600_NS17counting_iteratorIlNSB_11use_defaultESD_SD_EEPNS0_10empty_typeENS0_5tupleIJPlSF_EEENSH_IJSI_SG_EEENS0_18inequality_wrapperIN6hipcub16HIPCUB_304000_NS8EqualityEEESI_JSF_EEE10hipError_tPvRmT3_T4_T5_T6_T7_T9_mT8_P12ihipStream_tbDpT10_ENKUlT_T0_E_clISt17integral_constantIbLb1EES19_EEDaS14_S15_EUlS14_E_NS1_11comp_targetILNS1_3genE10ELNS1_11target_archE1200ELNS1_3gpuE4ELNS1_3repE0EEENS1_30default_config_static_selectorELNS0_4arch9wavefront6targetE1EEEvT1_
	.p2align	8
	.type	_ZN7rocprim17ROCPRIM_400000_NS6detail17trampoline_kernelINS0_14default_configENS1_25partition_config_selectorILNS1_17partition_subalgoE9EllbEEZZNS1_14partition_implILS5_9ELb0ES3_jPKlN6thrust23THRUST_200600_302600_NS17counting_iteratorIlNSB_11use_defaultESD_SD_EEPNS0_10empty_typeENS0_5tupleIJPlSF_EEENSH_IJSI_SG_EEENS0_18inequality_wrapperIN6hipcub16HIPCUB_304000_NS8EqualityEEESI_JSF_EEE10hipError_tPvRmT3_T4_T5_T6_T7_T9_mT8_P12ihipStream_tbDpT10_ENKUlT_T0_E_clISt17integral_constantIbLb1EES19_EEDaS14_S15_EUlS14_E_NS1_11comp_targetILNS1_3genE10ELNS1_11target_archE1200ELNS1_3gpuE4ELNS1_3repE0EEENS1_30default_config_static_selectorELNS0_4arch9wavefront6targetE1EEEvT1_,@function
_ZN7rocprim17ROCPRIM_400000_NS6detail17trampoline_kernelINS0_14default_configENS1_25partition_config_selectorILNS1_17partition_subalgoE9EllbEEZZNS1_14partition_implILS5_9ELb0ES3_jPKlN6thrust23THRUST_200600_302600_NS17counting_iteratorIlNSB_11use_defaultESD_SD_EEPNS0_10empty_typeENS0_5tupleIJPlSF_EEENSH_IJSI_SG_EEENS0_18inequality_wrapperIN6hipcub16HIPCUB_304000_NS8EqualityEEESI_JSF_EEE10hipError_tPvRmT3_T4_T5_T6_T7_T9_mT8_P12ihipStream_tbDpT10_ENKUlT_T0_E_clISt17integral_constantIbLb1EES19_EEDaS14_S15_EUlS14_E_NS1_11comp_targetILNS1_3genE10ELNS1_11target_archE1200ELNS1_3gpuE4ELNS1_3repE0EEENS1_30default_config_static_selectorELNS0_4arch9wavefront6targetE1EEEvT1_: ; @_ZN7rocprim17ROCPRIM_400000_NS6detail17trampoline_kernelINS0_14default_configENS1_25partition_config_selectorILNS1_17partition_subalgoE9EllbEEZZNS1_14partition_implILS5_9ELb0ES3_jPKlN6thrust23THRUST_200600_302600_NS17counting_iteratorIlNSB_11use_defaultESD_SD_EEPNS0_10empty_typeENS0_5tupleIJPlSF_EEENSH_IJSI_SG_EEENS0_18inequality_wrapperIN6hipcub16HIPCUB_304000_NS8EqualityEEESI_JSF_EEE10hipError_tPvRmT3_T4_T5_T6_T7_T9_mT8_P12ihipStream_tbDpT10_ENKUlT_T0_E_clISt17integral_constantIbLb1EES19_EEDaS14_S15_EUlS14_E_NS1_11comp_targetILNS1_3genE10ELNS1_11target_archE1200ELNS1_3gpuE4ELNS1_3repE0EEENS1_30default_config_static_selectorELNS0_4arch9wavefront6targetE1EEEvT1_
; %bb.0:
	.section	.rodata,"a",@progbits
	.p2align	6, 0x0
	.amdhsa_kernel _ZN7rocprim17ROCPRIM_400000_NS6detail17trampoline_kernelINS0_14default_configENS1_25partition_config_selectorILNS1_17partition_subalgoE9EllbEEZZNS1_14partition_implILS5_9ELb0ES3_jPKlN6thrust23THRUST_200600_302600_NS17counting_iteratorIlNSB_11use_defaultESD_SD_EEPNS0_10empty_typeENS0_5tupleIJPlSF_EEENSH_IJSI_SG_EEENS0_18inequality_wrapperIN6hipcub16HIPCUB_304000_NS8EqualityEEESI_JSF_EEE10hipError_tPvRmT3_T4_T5_T6_T7_T9_mT8_P12ihipStream_tbDpT10_ENKUlT_T0_E_clISt17integral_constantIbLb1EES19_EEDaS14_S15_EUlS14_E_NS1_11comp_targetILNS1_3genE10ELNS1_11target_archE1200ELNS1_3gpuE4ELNS1_3repE0EEENS1_30default_config_static_selectorELNS0_4arch9wavefront6targetE1EEEvT1_
		.amdhsa_group_segment_fixed_size 0
		.amdhsa_private_segment_fixed_size 0
		.amdhsa_kernarg_size 128
		.amdhsa_user_sgpr_count 6
		.amdhsa_user_sgpr_private_segment_buffer 1
		.amdhsa_user_sgpr_dispatch_ptr 0
		.amdhsa_user_sgpr_queue_ptr 0
		.amdhsa_user_sgpr_kernarg_segment_ptr 1
		.amdhsa_user_sgpr_dispatch_id 0
		.amdhsa_user_sgpr_flat_scratch_init 0
		.amdhsa_user_sgpr_kernarg_preload_length 0
		.amdhsa_user_sgpr_kernarg_preload_offset 0
		.amdhsa_user_sgpr_private_segment_size 0
		.amdhsa_uses_dynamic_stack 0
		.amdhsa_system_sgpr_private_segment_wavefront_offset 0
		.amdhsa_system_sgpr_workgroup_id_x 1
		.amdhsa_system_sgpr_workgroup_id_y 0
		.amdhsa_system_sgpr_workgroup_id_z 0
		.amdhsa_system_sgpr_workgroup_info 0
		.amdhsa_system_vgpr_workitem_id 0
		.amdhsa_next_free_vgpr 1
		.amdhsa_next_free_sgpr 0
		.amdhsa_accum_offset 4
		.amdhsa_reserve_vcc 0
		.amdhsa_reserve_flat_scratch 0
		.amdhsa_float_round_mode_32 0
		.amdhsa_float_round_mode_16_64 0
		.amdhsa_float_denorm_mode_32 3
		.amdhsa_float_denorm_mode_16_64 3
		.amdhsa_dx10_clamp 1
		.amdhsa_ieee_mode 1
		.amdhsa_fp16_overflow 0
		.amdhsa_tg_split 0
		.amdhsa_exception_fp_ieee_invalid_op 0
		.amdhsa_exception_fp_denorm_src 0
		.amdhsa_exception_fp_ieee_div_zero 0
		.amdhsa_exception_fp_ieee_overflow 0
		.amdhsa_exception_fp_ieee_underflow 0
		.amdhsa_exception_fp_ieee_inexact 0
		.amdhsa_exception_int_div_zero 0
	.end_amdhsa_kernel
	.section	.text._ZN7rocprim17ROCPRIM_400000_NS6detail17trampoline_kernelINS0_14default_configENS1_25partition_config_selectorILNS1_17partition_subalgoE9EllbEEZZNS1_14partition_implILS5_9ELb0ES3_jPKlN6thrust23THRUST_200600_302600_NS17counting_iteratorIlNSB_11use_defaultESD_SD_EEPNS0_10empty_typeENS0_5tupleIJPlSF_EEENSH_IJSI_SG_EEENS0_18inequality_wrapperIN6hipcub16HIPCUB_304000_NS8EqualityEEESI_JSF_EEE10hipError_tPvRmT3_T4_T5_T6_T7_T9_mT8_P12ihipStream_tbDpT10_ENKUlT_T0_E_clISt17integral_constantIbLb1EES19_EEDaS14_S15_EUlS14_E_NS1_11comp_targetILNS1_3genE10ELNS1_11target_archE1200ELNS1_3gpuE4ELNS1_3repE0EEENS1_30default_config_static_selectorELNS0_4arch9wavefront6targetE1EEEvT1_,"axG",@progbits,_ZN7rocprim17ROCPRIM_400000_NS6detail17trampoline_kernelINS0_14default_configENS1_25partition_config_selectorILNS1_17partition_subalgoE9EllbEEZZNS1_14partition_implILS5_9ELb0ES3_jPKlN6thrust23THRUST_200600_302600_NS17counting_iteratorIlNSB_11use_defaultESD_SD_EEPNS0_10empty_typeENS0_5tupleIJPlSF_EEENSH_IJSI_SG_EEENS0_18inequality_wrapperIN6hipcub16HIPCUB_304000_NS8EqualityEEESI_JSF_EEE10hipError_tPvRmT3_T4_T5_T6_T7_T9_mT8_P12ihipStream_tbDpT10_ENKUlT_T0_E_clISt17integral_constantIbLb1EES19_EEDaS14_S15_EUlS14_E_NS1_11comp_targetILNS1_3genE10ELNS1_11target_archE1200ELNS1_3gpuE4ELNS1_3repE0EEENS1_30default_config_static_selectorELNS0_4arch9wavefront6targetE1EEEvT1_,comdat
.Lfunc_end57:
	.size	_ZN7rocprim17ROCPRIM_400000_NS6detail17trampoline_kernelINS0_14default_configENS1_25partition_config_selectorILNS1_17partition_subalgoE9EllbEEZZNS1_14partition_implILS5_9ELb0ES3_jPKlN6thrust23THRUST_200600_302600_NS17counting_iteratorIlNSB_11use_defaultESD_SD_EEPNS0_10empty_typeENS0_5tupleIJPlSF_EEENSH_IJSI_SG_EEENS0_18inequality_wrapperIN6hipcub16HIPCUB_304000_NS8EqualityEEESI_JSF_EEE10hipError_tPvRmT3_T4_T5_T6_T7_T9_mT8_P12ihipStream_tbDpT10_ENKUlT_T0_E_clISt17integral_constantIbLb1EES19_EEDaS14_S15_EUlS14_E_NS1_11comp_targetILNS1_3genE10ELNS1_11target_archE1200ELNS1_3gpuE4ELNS1_3repE0EEENS1_30default_config_static_selectorELNS0_4arch9wavefront6targetE1EEEvT1_, .Lfunc_end57-_ZN7rocprim17ROCPRIM_400000_NS6detail17trampoline_kernelINS0_14default_configENS1_25partition_config_selectorILNS1_17partition_subalgoE9EllbEEZZNS1_14partition_implILS5_9ELb0ES3_jPKlN6thrust23THRUST_200600_302600_NS17counting_iteratorIlNSB_11use_defaultESD_SD_EEPNS0_10empty_typeENS0_5tupleIJPlSF_EEENSH_IJSI_SG_EEENS0_18inequality_wrapperIN6hipcub16HIPCUB_304000_NS8EqualityEEESI_JSF_EEE10hipError_tPvRmT3_T4_T5_T6_T7_T9_mT8_P12ihipStream_tbDpT10_ENKUlT_T0_E_clISt17integral_constantIbLb1EES19_EEDaS14_S15_EUlS14_E_NS1_11comp_targetILNS1_3genE10ELNS1_11target_archE1200ELNS1_3gpuE4ELNS1_3repE0EEENS1_30default_config_static_selectorELNS0_4arch9wavefront6targetE1EEEvT1_
                                        ; -- End function
	.section	.AMDGPU.csdata,"",@progbits
; Kernel info:
; codeLenInByte = 0
; NumSgprs: 4
; NumVgprs: 0
; NumAgprs: 0
; TotalNumVgprs: 0
; ScratchSize: 0
; MemoryBound: 0
; FloatMode: 240
; IeeeMode: 1
; LDSByteSize: 0 bytes/workgroup (compile time only)
; SGPRBlocks: 0
; VGPRBlocks: 0
; NumSGPRsForWavesPerEU: 4
; NumVGPRsForWavesPerEU: 1
; AccumOffset: 4
; Occupancy: 8
; WaveLimiterHint : 0
; COMPUTE_PGM_RSRC2:SCRATCH_EN: 0
; COMPUTE_PGM_RSRC2:USER_SGPR: 6
; COMPUTE_PGM_RSRC2:TRAP_HANDLER: 0
; COMPUTE_PGM_RSRC2:TGID_X_EN: 1
; COMPUTE_PGM_RSRC2:TGID_Y_EN: 0
; COMPUTE_PGM_RSRC2:TGID_Z_EN: 0
; COMPUTE_PGM_RSRC2:TIDIG_COMP_CNT: 0
; COMPUTE_PGM_RSRC3_GFX90A:ACCUM_OFFSET: 0
; COMPUTE_PGM_RSRC3_GFX90A:TG_SPLIT: 0
	.section	.text._ZN7rocprim17ROCPRIM_400000_NS6detail17trampoline_kernelINS0_14default_configENS1_25partition_config_selectorILNS1_17partition_subalgoE9EllbEEZZNS1_14partition_implILS5_9ELb0ES3_jPKlN6thrust23THRUST_200600_302600_NS17counting_iteratorIlNSB_11use_defaultESD_SD_EEPNS0_10empty_typeENS0_5tupleIJPlSF_EEENSH_IJSI_SG_EEENS0_18inequality_wrapperIN6hipcub16HIPCUB_304000_NS8EqualityEEESI_JSF_EEE10hipError_tPvRmT3_T4_T5_T6_T7_T9_mT8_P12ihipStream_tbDpT10_ENKUlT_T0_E_clISt17integral_constantIbLb1EES19_EEDaS14_S15_EUlS14_E_NS1_11comp_targetILNS1_3genE9ELNS1_11target_archE1100ELNS1_3gpuE3ELNS1_3repE0EEENS1_30default_config_static_selectorELNS0_4arch9wavefront6targetE1EEEvT1_,"axG",@progbits,_ZN7rocprim17ROCPRIM_400000_NS6detail17trampoline_kernelINS0_14default_configENS1_25partition_config_selectorILNS1_17partition_subalgoE9EllbEEZZNS1_14partition_implILS5_9ELb0ES3_jPKlN6thrust23THRUST_200600_302600_NS17counting_iteratorIlNSB_11use_defaultESD_SD_EEPNS0_10empty_typeENS0_5tupleIJPlSF_EEENSH_IJSI_SG_EEENS0_18inequality_wrapperIN6hipcub16HIPCUB_304000_NS8EqualityEEESI_JSF_EEE10hipError_tPvRmT3_T4_T5_T6_T7_T9_mT8_P12ihipStream_tbDpT10_ENKUlT_T0_E_clISt17integral_constantIbLb1EES19_EEDaS14_S15_EUlS14_E_NS1_11comp_targetILNS1_3genE9ELNS1_11target_archE1100ELNS1_3gpuE3ELNS1_3repE0EEENS1_30default_config_static_selectorELNS0_4arch9wavefront6targetE1EEEvT1_,comdat
	.protected	_ZN7rocprim17ROCPRIM_400000_NS6detail17trampoline_kernelINS0_14default_configENS1_25partition_config_selectorILNS1_17partition_subalgoE9EllbEEZZNS1_14partition_implILS5_9ELb0ES3_jPKlN6thrust23THRUST_200600_302600_NS17counting_iteratorIlNSB_11use_defaultESD_SD_EEPNS0_10empty_typeENS0_5tupleIJPlSF_EEENSH_IJSI_SG_EEENS0_18inequality_wrapperIN6hipcub16HIPCUB_304000_NS8EqualityEEESI_JSF_EEE10hipError_tPvRmT3_T4_T5_T6_T7_T9_mT8_P12ihipStream_tbDpT10_ENKUlT_T0_E_clISt17integral_constantIbLb1EES19_EEDaS14_S15_EUlS14_E_NS1_11comp_targetILNS1_3genE9ELNS1_11target_archE1100ELNS1_3gpuE3ELNS1_3repE0EEENS1_30default_config_static_selectorELNS0_4arch9wavefront6targetE1EEEvT1_ ; -- Begin function _ZN7rocprim17ROCPRIM_400000_NS6detail17trampoline_kernelINS0_14default_configENS1_25partition_config_selectorILNS1_17partition_subalgoE9EllbEEZZNS1_14partition_implILS5_9ELb0ES3_jPKlN6thrust23THRUST_200600_302600_NS17counting_iteratorIlNSB_11use_defaultESD_SD_EEPNS0_10empty_typeENS0_5tupleIJPlSF_EEENSH_IJSI_SG_EEENS0_18inequality_wrapperIN6hipcub16HIPCUB_304000_NS8EqualityEEESI_JSF_EEE10hipError_tPvRmT3_T4_T5_T6_T7_T9_mT8_P12ihipStream_tbDpT10_ENKUlT_T0_E_clISt17integral_constantIbLb1EES19_EEDaS14_S15_EUlS14_E_NS1_11comp_targetILNS1_3genE9ELNS1_11target_archE1100ELNS1_3gpuE3ELNS1_3repE0EEENS1_30default_config_static_selectorELNS0_4arch9wavefront6targetE1EEEvT1_
	.globl	_ZN7rocprim17ROCPRIM_400000_NS6detail17trampoline_kernelINS0_14default_configENS1_25partition_config_selectorILNS1_17partition_subalgoE9EllbEEZZNS1_14partition_implILS5_9ELb0ES3_jPKlN6thrust23THRUST_200600_302600_NS17counting_iteratorIlNSB_11use_defaultESD_SD_EEPNS0_10empty_typeENS0_5tupleIJPlSF_EEENSH_IJSI_SG_EEENS0_18inequality_wrapperIN6hipcub16HIPCUB_304000_NS8EqualityEEESI_JSF_EEE10hipError_tPvRmT3_T4_T5_T6_T7_T9_mT8_P12ihipStream_tbDpT10_ENKUlT_T0_E_clISt17integral_constantIbLb1EES19_EEDaS14_S15_EUlS14_E_NS1_11comp_targetILNS1_3genE9ELNS1_11target_archE1100ELNS1_3gpuE3ELNS1_3repE0EEENS1_30default_config_static_selectorELNS0_4arch9wavefront6targetE1EEEvT1_
	.p2align	8
	.type	_ZN7rocprim17ROCPRIM_400000_NS6detail17trampoline_kernelINS0_14default_configENS1_25partition_config_selectorILNS1_17partition_subalgoE9EllbEEZZNS1_14partition_implILS5_9ELb0ES3_jPKlN6thrust23THRUST_200600_302600_NS17counting_iteratorIlNSB_11use_defaultESD_SD_EEPNS0_10empty_typeENS0_5tupleIJPlSF_EEENSH_IJSI_SG_EEENS0_18inequality_wrapperIN6hipcub16HIPCUB_304000_NS8EqualityEEESI_JSF_EEE10hipError_tPvRmT3_T4_T5_T6_T7_T9_mT8_P12ihipStream_tbDpT10_ENKUlT_T0_E_clISt17integral_constantIbLb1EES19_EEDaS14_S15_EUlS14_E_NS1_11comp_targetILNS1_3genE9ELNS1_11target_archE1100ELNS1_3gpuE3ELNS1_3repE0EEENS1_30default_config_static_selectorELNS0_4arch9wavefront6targetE1EEEvT1_,@function
_ZN7rocprim17ROCPRIM_400000_NS6detail17trampoline_kernelINS0_14default_configENS1_25partition_config_selectorILNS1_17partition_subalgoE9EllbEEZZNS1_14partition_implILS5_9ELb0ES3_jPKlN6thrust23THRUST_200600_302600_NS17counting_iteratorIlNSB_11use_defaultESD_SD_EEPNS0_10empty_typeENS0_5tupleIJPlSF_EEENSH_IJSI_SG_EEENS0_18inequality_wrapperIN6hipcub16HIPCUB_304000_NS8EqualityEEESI_JSF_EEE10hipError_tPvRmT3_T4_T5_T6_T7_T9_mT8_P12ihipStream_tbDpT10_ENKUlT_T0_E_clISt17integral_constantIbLb1EES19_EEDaS14_S15_EUlS14_E_NS1_11comp_targetILNS1_3genE9ELNS1_11target_archE1100ELNS1_3gpuE3ELNS1_3repE0EEENS1_30default_config_static_selectorELNS0_4arch9wavefront6targetE1EEEvT1_: ; @_ZN7rocprim17ROCPRIM_400000_NS6detail17trampoline_kernelINS0_14default_configENS1_25partition_config_selectorILNS1_17partition_subalgoE9EllbEEZZNS1_14partition_implILS5_9ELb0ES3_jPKlN6thrust23THRUST_200600_302600_NS17counting_iteratorIlNSB_11use_defaultESD_SD_EEPNS0_10empty_typeENS0_5tupleIJPlSF_EEENSH_IJSI_SG_EEENS0_18inequality_wrapperIN6hipcub16HIPCUB_304000_NS8EqualityEEESI_JSF_EEE10hipError_tPvRmT3_T4_T5_T6_T7_T9_mT8_P12ihipStream_tbDpT10_ENKUlT_T0_E_clISt17integral_constantIbLb1EES19_EEDaS14_S15_EUlS14_E_NS1_11comp_targetILNS1_3genE9ELNS1_11target_archE1100ELNS1_3gpuE3ELNS1_3repE0EEENS1_30default_config_static_selectorELNS0_4arch9wavefront6targetE1EEEvT1_
; %bb.0:
	.section	.rodata,"a",@progbits
	.p2align	6, 0x0
	.amdhsa_kernel _ZN7rocprim17ROCPRIM_400000_NS6detail17trampoline_kernelINS0_14default_configENS1_25partition_config_selectorILNS1_17partition_subalgoE9EllbEEZZNS1_14partition_implILS5_9ELb0ES3_jPKlN6thrust23THRUST_200600_302600_NS17counting_iteratorIlNSB_11use_defaultESD_SD_EEPNS0_10empty_typeENS0_5tupleIJPlSF_EEENSH_IJSI_SG_EEENS0_18inequality_wrapperIN6hipcub16HIPCUB_304000_NS8EqualityEEESI_JSF_EEE10hipError_tPvRmT3_T4_T5_T6_T7_T9_mT8_P12ihipStream_tbDpT10_ENKUlT_T0_E_clISt17integral_constantIbLb1EES19_EEDaS14_S15_EUlS14_E_NS1_11comp_targetILNS1_3genE9ELNS1_11target_archE1100ELNS1_3gpuE3ELNS1_3repE0EEENS1_30default_config_static_selectorELNS0_4arch9wavefront6targetE1EEEvT1_
		.amdhsa_group_segment_fixed_size 0
		.amdhsa_private_segment_fixed_size 0
		.amdhsa_kernarg_size 128
		.amdhsa_user_sgpr_count 6
		.amdhsa_user_sgpr_private_segment_buffer 1
		.amdhsa_user_sgpr_dispatch_ptr 0
		.amdhsa_user_sgpr_queue_ptr 0
		.amdhsa_user_sgpr_kernarg_segment_ptr 1
		.amdhsa_user_sgpr_dispatch_id 0
		.amdhsa_user_sgpr_flat_scratch_init 0
		.amdhsa_user_sgpr_kernarg_preload_length 0
		.amdhsa_user_sgpr_kernarg_preload_offset 0
		.amdhsa_user_sgpr_private_segment_size 0
		.amdhsa_uses_dynamic_stack 0
		.amdhsa_system_sgpr_private_segment_wavefront_offset 0
		.amdhsa_system_sgpr_workgroup_id_x 1
		.amdhsa_system_sgpr_workgroup_id_y 0
		.amdhsa_system_sgpr_workgroup_id_z 0
		.amdhsa_system_sgpr_workgroup_info 0
		.amdhsa_system_vgpr_workitem_id 0
		.amdhsa_next_free_vgpr 1
		.amdhsa_next_free_sgpr 0
		.amdhsa_accum_offset 4
		.amdhsa_reserve_vcc 0
		.amdhsa_reserve_flat_scratch 0
		.amdhsa_float_round_mode_32 0
		.amdhsa_float_round_mode_16_64 0
		.amdhsa_float_denorm_mode_32 3
		.amdhsa_float_denorm_mode_16_64 3
		.amdhsa_dx10_clamp 1
		.amdhsa_ieee_mode 1
		.amdhsa_fp16_overflow 0
		.amdhsa_tg_split 0
		.amdhsa_exception_fp_ieee_invalid_op 0
		.amdhsa_exception_fp_denorm_src 0
		.amdhsa_exception_fp_ieee_div_zero 0
		.amdhsa_exception_fp_ieee_overflow 0
		.amdhsa_exception_fp_ieee_underflow 0
		.amdhsa_exception_fp_ieee_inexact 0
		.amdhsa_exception_int_div_zero 0
	.end_amdhsa_kernel
	.section	.text._ZN7rocprim17ROCPRIM_400000_NS6detail17trampoline_kernelINS0_14default_configENS1_25partition_config_selectorILNS1_17partition_subalgoE9EllbEEZZNS1_14partition_implILS5_9ELb0ES3_jPKlN6thrust23THRUST_200600_302600_NS17counting_iteratorIlNSB_11use_defaultESD_SD_EEPNS0_10empty_typeENS0_5tupleIJPlSF_EEENSH_IJSI_SG_EEENS0_18inequality_wrapperIN6hipcub16HIPCUB_304000_NS8EqualityEEESI_JSF_EEE10hipError_tPvRmT3_T4_T5_T6_T7_T9_mT8_P12ihipStream_tbDpT10_ENKUlT_T0_E_clISt17integral_constantIbLb1EES19_EEDaS14_S15_EUlS14_E_NS1_11comp_targetILNS1_3genE9ELNS1_11target_archE1100ELNS1_3gpuE3ELNS1_3repE0EEENS1_30default_config_static_selectorELNS0_4arch9wavefront6targetE1EEEvT1_,"axG",@progbits,_ZN7rocprim17ROCPRIM_400000_NS6detail17trampoline_kernelINS0_14default_configENS1_25partition_config_selectorILNS1_17partition_subalgoE9EllbEEZZNS1_14partition_implILS5_9ELb0ES3_jPKlN6thrust23THRUST_200600_302600_NS17counting_iteratorIlNSB_11use_defaultESD_SD_EEPNS0_10empty_typeENS0_5tupleIJPlSF_EEENSH_IJSI_SG_EEENS0_18inequality_wrapperIN6hipcub16HIPCUB_304000_NS8EqualityEEESI_JSF_EEE10hipError_tPvRmT3_T4_T5_T6_T7_T9_mT8_P12ihipStream_tbDpT10_ENKUlT_T0_E_clISt17integral_constantIbLb1EES19_EEDaS14_S15_EUlS14_E_NS1_11comp_targetILNS1_3genE9ELNS1_11target_archE1100ELNS1_3gpuE3ELNS1_3repE0EEENS1_30default_config_static_selectorELNS0_4arch9wavefront6targetE1EEEvT1_,comdat
.Lfunc_end58:
	.size	_ZN7rocprim17ROCPRIM_400000_NS6detail17trampoline_kernelINS0_14default_configENS1_25partition_config_selectorILNS1_17partition_subalgoE9EllbEEZZNS1_14partition_implILS5_9ELb0ES3_jPKlN6thrust23THRUST_200600_302600_NS17counting_iteratorIlNSB_11use_defaultESD_SD_EEPNS0_10empty_typeENS0_5tupleIJPlSF_EEENSH_IJSI_SG_EEENS0_18inequality_wrapperIN6hipcub16HIPCUB_304000_NS8EqualityEEESI_JSF_EEE10hipError_tPvRmT3_T4_T5_T6_T7_T9_mT8_P12ihipStream_tbDpT10_ENKUlT_T0_E_clISt17integral_constantIbLb1EES19_EEDaS14_S15_EUlS14_E_NS1_11comp_targetILNS1_3genE9ELNS1_11target_archE1100ELNS1_3gpuE3ELNS1_3repE0EEENS1_30default_config_static_selectorELNS0_4arch9wavefront6targetE1EEEvT1_, .Lfunc_end58-_ZN7rocprim17ROCPRIM_400000_NS6detail17trampoline_kernelINS0_14default_configENS1_25partition_config_selectorILNS1_17partition_subalgoE9EllbEEZZNS1_14partition_implILS5_9ELb0ES3_jPKlN6thrust23THRUST_200600_302600_NS17counting_iteratorIlNSB_11use_defaultESD_SD_EEPNS0_10empty_typeENS0_5tupleIJPlSF_EEENSH_IJSI_SG_EEENS0_18inequality_wrapperIN6hipcub16HIPCUB_304000_NS8EqualityEEESI_JSF_EEE10hipError_tPvRmT3_T4_T5_T6_T7_T9_mT8_P12ihipStream_tbDpT10_ENKUlT_T0_E_clISt17integral_constantIbLb1EES19_EEDaS14_S15_EUlS14_E_NS1_11comp_targetILNS1_3genE9ELNS1_11target_archE1100ELNS1_3gpuE3ELNS1_3repE0EEENS1_30default_config_static_selectorELNS0_4arch9wavefront6targetE1EEEvT1_
                                        ; -- End function
	.section	.AMDGPU.csdata,"",@progbits
; Kernel info:
; codeLenInByte = 0
; NumSgprs: 4
; NumVgprs: 0
; NumAgprs: 0
; TotalNumVgprs: 0
; ScratchSize: 0
; MemoryBound: 0
; FloatMode: 240
; IeeeMode: 1
; LDSByteSize: 0 bytes/workgroup (compile time only)
; SGPRBlocks: 0
; VGPRBlocks: 0
; NumSGPRsForWavesPerEU: 4
; NumVGPRsForWavesPerEU: 1
; AccumOffset: 4
; Occupancy: 8
; WaveLimiterHint : 0
; COMPUTE_PGM_RSRC2:SCRATCH_EN: 0
; COMPUTE_PGM_RSRC2:USER_SGPR: 6
; COMPUTE_PGM_RSRC2:TRAP_HANDLER: 0
; COMPUTE_PGM_RSRC2:TGID_X_EN: 1
; COMPUTE_PGM_RSRC2:TGID_Y_EN: 0
; COMPUTE_PGM_RSRC2:TGID_Z_EN: 0
; COMPUTE_PGM_RSRC2:TIDIG_COMP_CNT: 0
; COMPUTE_PGM_RSRC3_GFX90A:ACCUM_OFFSET: 0
; COMPUTE_PGM_RSRC3_GFX90A:TG_SPLIT: 0
	.section	.text._ZN7rocprim17ROCPRIM_400000_NS6detail17trampoline_kernelINS0_14default_configENS1_25partition_config_selectorILNS1_17partition_subalgoE9EllbEEZZNS1_14partition_implILS5_9ELb0ES3_jPKlN6thrust23THRUST_200600_302600_NS17counting_iteratorIlNSB_11use_defaultESD_SD_EEPNS0_10empty_typeENS0_5tupleIJPlSF_EEENSH_IJSI_SG_EEENS0_18inequality_wrapperIN6hipcub16HIPCUB_304000_NS8EqualityEEESI_JSF_EEE10hipError_tPvRmT3_T4_T5_T6_T7_T9_mT8_P12ihipStream_tbDpT10_ENKUlT_T0_E_clISt17integral_constantIbLb1EES19_EEDaS14_S15_EUlS14_E_NS1_11comp_targetILNS1_3genE8ELNS1_11target_archE1030ELNS1_3gpuE2ELNS1_3repE0EEENS1_30default_config_static_selectorELNS0_4arch9wavefront6targetE1EEEvT1_,"axG",@progbits,_ZN7rocprim17ROCPRIM_400000_NS6detail17trampoline_kernelINS0_14default_configENS1_25partition_config_selectorILNS1_17partition_subalgoE9EllbEEZZNS1_14partition_implILS5_9ELb0ES3_jPKlN6thrust23THRUST_200600_302600_NS17counting_iteratorIlNSB_11use_defaultESD_SD_EEPNS0_10empty_typeENS0_5tupleIJPlSF_EEENSH_IJSI_SG_EEENS0_18inequality_wrapperIN6hipcub16HIPCUB_304000_NS8EqualityEEESI_JSF_EEE10hipError_tPvRmT3_T4_T5_T6_T7_T9_mT8_P12ihipStream_tbDpT10_ENKUlT_T0_E_clISt17integral_constantIbLb1EES19_EEDaS14_S15_EUlS14_E_NS1_11comp_targetILNS1_3genE8ELNS1_11target_archE1030ELNS1_3gpuE2ELNS1_3repE0EEENS1_30default_config_static_selectorELNS0_4arch9wavefront6targetE1EEEvT1_,comdat
	.protected	_ZN7rocprim17ROCPRIM_400000_NS6detail17trampoline_kernelINS0_14default_configENS1_25partition_config_selectorILNS1_17partition_subalgoE9EllbEEZZNS1_14partition_implILS5_9ELb0ES3_jPKlN6thrust23THRUST_200600_302600_NS17counting_iteratorIlNSB_11use_defaultESD_SD_EEPNS0_10empty_typeENS0_5tupleIJPlSF_EEENSH_IJSI_SG_EEENS0_18inequality_wrapperIN6hipcub16HIPCUB_304000_NS8EqualityEEESI_JSF_EEE10hipError_tPvRmT3_T4_T5_T6_T7_T9_mT8_P12ihipStream_tbDpT10_ENKUlT_T0_E_clISt17integral_constantIbLb1EES19_EEDaS14_S15_EUlS14_E_NS1_11comp_targetILNS1_3genE8ELNS1_11target_archE1030ELNS1_3gpuE2ELNS1_3repE0EEENS1_30default_config_static_selectorELNS0_4arch9wavefront6targetE1EEEvT1_ ; -- Begin function _ZN7rocprim17ROCPRIM_400000_NS6detail17trampoline_kernelINS0_14default_configENS1_25partition_config_selectorILNS1_17partition_subalgoE9EllbEEZZNS1_14partition_implILS5_9ELb0ES3_jPKlN6thrust23THRUST_200600_302600_NS17counting_iteratorIlNSB_11use_defaultESD_SD_EEPNS0_10empty_typeENS0_5tupleIJPlSF_EEENSH_IJSI_SG_EEENS0_18inequality_wrapperIN6hipcub16HIPCUB_304000_NS8EqualityEEESI_JSF_EEE10hipError_tPvRmT3_T4_T5_T6_T7_T9_mT8_P12ihipStream_tbDpT10_ENKUlT_T0_E_clISt17integral_constantIbLb1EES19_EEDaS14_S15_EUlS14_E_NS1_11comp_targetILNS1_3genE8ELNS1_11target_archE1030ELNS1_3gpuE2ELNS1_3repE0EEENS1_30default_config_static_selectorELNS0_4arch9wavefront6targetE1EEEvT1_
	.globl	_ZN7rocprim17ROCPRIM_400000_NS6detail17trampoline_kernelINS0_14default_configENS1_25partition_config_selectorILNS1_17partition_subalgoE9EllbEEZZNS1_14partition_implILS5_9ELb0ES3_jPKlN6thrust23THRUST_200600_302600_NS17counting_iteratorIlNSB_11use_defaultESD_SD_EEPNS0_10empty_typeENS0_5tupleIJPlSF_EEENSH_IJSI_SG_EEENS0_18inequality_wrapperIN6hipcub16HIPCUB_304000_NS8EqualityEEESI_JSF_EEE10hipError_tPvRmT3_T4_T5_T6_T7_T9_mT8_P12ihipStream_tbDpT10_ENKUlT_T0_E_clISt17integral_constantIbLb1EES19_EEDaS14_S15_EUlS14_E_NS1_11comp_targetILNS1_3genE8ELNS1_11target_archE1030ELNS1_3gpuE2ELNS1_3repE0EEENS1_30default_config_static_selectorELNS0_4arch9wavefront6targetE1EEEvT1_
	.p2align	8
	.type	_ZN7rocprim17ROCPRIM_400000_NS6detail17trampoline_kernelINS0_14default_configENS1_25partition_config_selectorILNS1_17partition_subalgoE9EllbEEZZNS1_14partition_implILS5_9ELb0ES3_jPKlN6thrust23THRUST_200600_302600_NS17counting_iteratorIlNSB_11use_defaultESD_SD_EEPNS0_10empty_typeENS0_5tupleIJPlSF_EEENSH_IJSI_SG_EEENS0_18inequality_wrapperIN6hipcub16HIPCUB_304000_NS8EqualityEEESI_JSF_EEE10hipError_tPvRmT3_T4_T5_T6_T7_T9_mT8_P12ihipStream_tbDpT10_ENKUlT_T0_E_clISt17integral_constantIbLb1EES19_EEDaS14_S15_EUlS14_E_NS1_11comp_targetILNS1_3genE8ELNS1_11target_archE1030ELNS1_3gpuE2ELNS1_3repE0EEENS1_30default_config_static_selectorELNS0_4arch9wavefront6targetE1EEEvT1_,@function
_ZN7rocprim17ROCPRIM_400000_NS6detail17trampoline_kernelINS0_14default_configENS1_25partition_config_selectorILNS1_17partition_subalgoE9EllbEEZZNS1_14partition_implILS5_9ELb0ES3_jPKlN6thrust23THRUST_200600_302600_NS17counting_iteratorIlNSB_11use_defaultESD_SD_EEPNS0_10empty_typeENS0_5tupleIJPlSF_EEENSH_IJSI_SG_EEENS0_18inequality_wrapperIN6hipcub16HIPCUB_304000_NS8EqualityEEESI_JSF_EEE10hipError_tPvRmT3_T4_T5_T6_T7_T9_mT8_P12ihipStream_tbDpT10_ENKUlT_T0_E_clISt17integral_constantIbLb1EES19_EEDaS14_S15_EUlS14_E_NS1_11comp_targetILNS1_3genE8ELNS1_11target_archE1030ELNS1_3gpuE2ELNS1_3repE0EEENS1_30default_config_static_selectorELNS0_4arch9wavefront6targetE1EEEvT1_: ; @_ZN7rocprim17ROCPRIM_400000_NS6detail17trampoline_kernelINS0_14default_configENS1_25partition_config_selectorILNS1_17partition_subalgoE9EllbEEZZNS1_14partition_implILS5_9ELb0ES3_jPKlN6thrust23THRUST_200600_302600_NS17counting_iteratorIlNSB_11use_defaultESD_SD_EEPNS0_10empty_typeENS0_5tupleIJPlSF_EEENSH_IJSI_SG_EEENS0_18inequality_wrapperIN6hipcub16HIPCUB_304000_NS8EqualityEEESI_JSF_EEE10hipError_tPvRmT3_T4_T5_T6_T7_T9_mT8_P12ihipStream_tbDpT10_ENKUlT_T0_E_clISt17integral_constantIbLb1EES19_EEDaS14_S15_EUlS14_E_NS1_11comp_targetILNS1_3genE8ELNS1_11target_archE1030ELNS1_3gpuE2ELNS1_3repE0EEENS1_30default_config_static_selectorELNS0_4arch9wavefront6targetE1EEEvT1_
; %bb.0:
	.section	.rodata,"a",@progbits
	.p2align	6, 0x0
	.amdhsa_kernel _ZN7rocprim17ROCPRIM_400000_NS6detail17trampoline_kernelINS0_14default_configENS1_25partition_config_selectorILNS1_17partition_subalgoE9EllbEEZZNS1_14partition_implILS5_9ELb0ES3_jPKlN6thrust23THRUST_200600_302600_NS17counting_iteratorIlNSB_11use_defaultESD_SD_EEPNS0_10empty_typeENS0_5tupleIJPlSF_EEENSH_IJSI_SG_EEENS0_18inequality_wrapperIN6hipcub16HIPCUB_304000_NS8EqualityEEESI_JSF_EEE10hipError_tPvRmT3_T4_T5_T6_T7_T9_mT8_P12ihipStream_tbDpT10_ENKUlT_T0_E_clISt17integral_constantIbLb1EES19_EEDaS14_S15_EUlS14_E_NS1_11comp_targetILNS1_3genE8ELNS1_11target_archE1030ELNS1_3gpuE2ELNS1_3repE0EEENS1_30default_config_static_selectorELNS0_4arch9wavefront6targetE1EEEvT1_
		.amdhsa_group_segment_fixed_size 0
		.amdhsa_private_segment_fixed_size 0
		.amdhsa_kernarg_size 128
		.amdhsa_user_sgpr_count 6
		.amdhsa_user_sgpr_private_segment_buffer 1
		.amdhsa_user_sgpr_dispatch_ptr 0
		.amdhsa_user_sgpr_queue_ptr 0
		.amdhsa_user_sgpr_kernarg_segment_ptr 1
		.amdhsa_user_sgpr_dispatch_id 0
		.amdhsa_user_sgpr_flat_scratch_init 0
		.amdhsa_user_sgpr_kernarg_preload_length 0
		.amdhsa_user_sgpr_kernarg_preload_offset 0
		.amdhsa_user_sgpr_private_segment_size 0
		.amdhsa_uses_dynamic_stack 0
		.amdhsa_system_sgpr_private_segment_wavefront_offset 0
		.amdhsa_system_sgpr_workgroup_id_x 1
		.amdhsa_system_sgpr_workgroup_id_y 0
		.amdhsa_system_sgpr_workgroup_id_z 0
		.amdhsa_system_sgpr_workgroup_info 0
		.amdhsa_system_vgpr_workitem_id 0
		.amdhsa_next_free_vgpr 1
		.amdhsa_next_free_sgpr 0
		.amdhsa_accum_offset 4
		.amdhsa_reserve_vcc 0
		.amdhsa_reserve_flat_scratch 0
		.amdhsa_float_round_mode_32 0
		.amdhsa_float_round_mode_16_64 0
		.amdhsa_float_denorm_mode_32 3
		.amdhsa_float_denorm_mode_16_64 3
		.amdhsa_dx10_clamp 1
		.amdhsa_ieee_mode 1
		.amdhsa_fp16_overflow 0
		.amdhsa_tg_split 0
		.amdhsa_exception_fp_ieee_invalid_op 0
		.amdhsa_exception_fp_denorm_src 0
		.amdhsa_exception_fp_ieee_div_zero 0
		.amdhsa_exception_fp_ieee_overflow 0
		.amdhsa_exception_fp_ieee_underflow 0
		.amdhsa_exception_fp_ieee_inexact 0
		.amdhsa_exception_int_div_zero 0
	.end_amdhsa_kernel
	.section	.text._ZN7rocprim17ROCPRIM_400000_NS6detail17trampoline_kernelINS0_14default_configENS1_25partition_config_selectorILNS1_17partition_subalgoE9EllbEEZZNS1_14partition_implILS5_9ELb0ES3_jPKlN6thrust23THRUST_200600_302600_NS17counting_iteratorIlNSB_11use_defaultESD_SD_EEPNS0_10empty_typeENS0_5tupleIJPlSF_EEENSH_IJSI_SG_EEENS0_18inequality_wrapperIN6hipcub16HIPCUB_304000_NS8EqualityEEESI_JSF_EEE10hipError_tPvRmT3_T4_T5_T6_T7_T9_mT8_P12ihipStream_tbDpT10_ENKUlT_T0_E_clISt17integral_constantIbLb1EES19_EEDaS14_S15_EUlS14_E_NS1_11comp_targetILNS1_3genE8ELNS1_11target_archE1030ELNS1_3gpuE2ELNS1_3repE0EEENS1_30default_config_static_selectorELNS0_4arch9wavefront6targetE1EEEvT1_,"axG",@progbits,_ZN7rocprim17ROCPRIM_400000_NS6detail17trampoline_kernelINS0_14default_configENS1_25partition_config_selectorILNS1_17partition_subalgoE9EllbEEZZNS1_14partition_implILS5_9ELb0ES3_jPKlN6thrust23THRUST_200600_302600_NS17counting_iteratorIlNSB_11use_defaultESD_SD_EEPNS0_10empty_typeENS0_5tupleIJPlSF_EEENSH_IJSI_SG_EEENS0_18inequality_wrapperIN6hipcub16HIPCUB_304000_NS8EqualityEEESI_JSF_EEE10hipError_tPvRmT3_T4_T5_T6_T7_T9_mT8_P12ihipStream_tbDpT10_ENKUlT_T0_E_clISt17integral_constantIbLb1EES19_EEDaS14_S15_EUlS14_E_NS1_11comp_targetILNS1_3genE8ELNS1_11target_archE1030ELNS1_3gpuE2ELNS1_3repE0EEENS1_30default_config_static_selectorELNS0_4arch9wavefront6targetE1EEEvT1_,comdat
.Lfunc_end59:
	.size	_ZN7rocprim17ROCPRIM_400000_NS6detail17trampoline_kernelINS0_14default_configENS1_25partition_config_selectorILNS1_17partition_subalgoE9EllbEEZZNS1_14partition_implILS5_9ELb0ES3_jPKlN6thrust23THRUST_200600_302600_NS17counting_iteratorIlNSB_11use_defaultESD_SD_EEPNS0_10empty_typeENS0_5tupleIJPlSF_EEENSH_IJSI_SG_EEENS0_18inequality_wrapperIN6hipcub16HIPCUB_304000_NS8EqualityEEESI_JSF_EEE10hipError_tPvRmT3_T4_T5_T6_T7_T9_mT8_P12ihipStream_tbDpT10_ENKUlT_T0_E_clISt17integral_constantIbLb1EES19_EEDaS14_S15_EUlS14_E_NS1_11comp_targetILNS1_3genE8ELNS1_11target_archE1030ELNS1_3gpuE2ELNS1_3repE0EEENS1_30default_config_static_selectorELNS0_4arch9wavefront6targetE1EEEvT1_, .Lfunc_end59-_ZN7rocprim17ROCPRIM_400000_NS6detail17trampoline_kernelINS0_14default_configENS1_25partition_config_selectorILNS1_17partition_subalgoE9EllbEEZZNS1_14partition_implILS5_9ELb0ES3_jPKlN6thrust23THRUST_200600_302600_NS17counting_iteratorIlNSB_11use_defaultESD_SD_EEPNS0_10empty_typeENS0_5tupleIJPlSF_EEENSH_IJSI_SG_EEENS0_18inequality_wrapperIN6hipcub16HIPCUB_304000_NS8EqualityEEESI_JSF_EEE10hipError_tPvRmT3_T4_T5_T6_T7_T9_mT8_P12ihipStream_tbDpT10_ENKUlT_T0_E_clISt17integral_constantIbLb1EES19_EEDaS14_S15_EUlS14_E_NS1_11comp_targetILNS1_3genE8ELNS1_11target_archE1030ELNS1_3gpuE2ELNS1_3repE0EEENS1_30default_config_static_selectorELNS0_4arch9wavefront6targetE1EEEvT1_
                                        ; -- End function
	.section	.AMDGPU.csdata,"",@progbits
; Kernel info:
; codeLenInByte = 0
; NumSgprs: 4
; NumVgprs: 0
; NumAgprs: 0
; TotalNumVgprs: 0
; ScratchSize: 0
; MemoryBound: 0
; FloatMode: 240
; IeeeMode: 1
; LDSByteSize: 0 bytes/workgroup (compile time only)
; SGPRBlocks: 0
; VGPRBlocks: 0
; NumSGPRsForWavesPerEU: 4
; NumVGPRsForWavesPerEU: 1
; AccumOffset: 4
; Occupancy: 8
; WaveLimiterHint : 0
; COMPUTE_PGM_RSRC2:SCRATCH_EN: 0
; COMPUTE_PGM_RSRC2:USER_SGPR: 6
; COMPUTE_PGM_RSRC2:TRAP_HANDLER: 0
; COMPUTE_PGM_RSRC2:TGID_X_EN: 1
; COMPUTE_PGM_RSRC2:TGID_Y_EN: 0
; COMPUTE_PGM_RSRC2:TGID_Z_EN: 0
; COMPUTE_PGM_RSRC2:TIDIG_COMP_CNT: 0
; COMPUTE_PGM_RSRC3_GFX90A:ACCUM_OFFSET: 0
; COMPUTE_PGM_RSRC3_GFX90A:TG_SPLIT: 0
	.section	.text._ZN7rocprim17ROCPRIM_400000_NS6detail17trampoline_kernelINS0_14default_configENS1_25partition_config_selectorILNS1_17partition_subalgoE9EllbEEZZNS1_14partition_implILS5_9ELb0ES3_jPKlN6thrust23THRUST_200600_302600_NS17counting_iteratorIlNSB_11use_defaultESD_SD_EEPNS0_10empty_typeENS0_5tupleIJPlSF_EEENSH_IJSI_SG_EEENS0_18inequality_wrapperIN6hipcub16HIPCUB_304000_NS8EqualityEEESI_JSF_EEE10hipError_tPvRmT3_T4_T5_T6_T7_T9_mT8_P12ihipStream_tbDpT10_ENKUlT_T0_E_clISt17integral_constantIbLb1EES18_IbLb0EEEEDaS14_S15_EUlS14_E_NS1_11comp_targetILNS1_3genE0ELNS1_11target_archE4294967295ELNS1_3gpuE0ELNS1_3repE0EEENS1_30default_config_static_selectorELNS0_4arch9wavefront6targetE1EEEvT1_,"axG",@progbits,_ZN7rocprim17ROCPRIM_400000_NS6detail17trampoline_kernelINS0_14default_configENS1_25partition_config_selectorILNS1_17partition_subalgoE9EllbEEZZNS1_14partition_implILS5_9ELb0ES3_jPKlN6thrust23THRUST_200600_302600_NS17counting_iteratorIlNSB_11use_defaultESD_SD_EEPNS0_10empty_typeENS0_5tupleIJPlSF_EEENSH_IJSI_SG_EEENS0_18inequality_wrapperIN6hipcub16HIPCUB_304000_NS8EqualityEEESI_JSF_EEE10hipError_tPvRmT3_T4_T5_T6_T7_T9_mT8_P12ihipStream_tbDpT10_ENKUlT_T0_E_clISt17integral_constantIbLb1EES18_IbLb0EEEEDaS14_S15_EUlS14_E_NS1_11comp_targetILNS1_3genE0ELNS1_11target_archE4294967295ELNS1_3gpuE0ELNS1_3repE0EEENS1_30default_config_static_selectorELNS0_4arch9wavefront6targetE1EEEvT1_,comdat
	.protected	_ZN7rocprim17ROCPRIM_400000_NS6detail17trampoline_kernelINS0_14default_configENS1_25partition_config_selectorILNS1_17partition_subalgoE9EllbEEZZNS1_14partition_implILS5_9ELb0ES3_jPKlN6thrust23THRUST_200600_302600_NS17counting_iteratorIlNSB_11use_defaultESD_SD_EEPNS0_10empty_typeENS0_5tupleIJPlSF_EEENSH_IJSI_SG_EEENS0_18inequality_wrapperIN6hipcub16HIPCUB_304000_NS8EqualityEEESI_JSF_EEE10hipError_tPvRmT3_T4_T5_T6_T7_T9_mT8_P12ihipStream_tbDpT10_ENKUlT_T0_E_clISt17integral_constantIbLb1EES18_IbLb0EEEEDaS14_S15_EUlS14_E_NS1_11comp_targetILNS1_3genE0ELNS1_11target_archE4294967295ELNS1_3gpuE0ELNS1_3repE0EEENS1_30default_config_static_selectorELNS0_4arch9wavefront6targetE1EEEvT1_ ; -- Begin function _ZN7rocprim17ROCPRIM_400000_NS6detail17trampoline_kernelINS0_14default_configENS1_25partition_config_selectorILNS1_17partition_subalgoE9EllbEEZZNS1_14partition_implILS5_9ELb0ES3_jPKlN6thrust23THRUST_200600_302600_NS17counting_iteratorIlNSB_11use_defaultESD_SD_EEPNS0_10empty_typeENS0_5tupleIJPlSF_EEENSH_IJSI_SG_EEENS0_18inequality_wrapperIN6hipcub16HIPCUB_304000_NS8EqualityEEESI_JSF_EEE10hipError_tPvRmT3_T4_T5_T6_T7_T9_mT8_P12ihipStream_tbDpT10_ENKUlT_T0_E_clISt17integral_constantIbLb1EES18_IbLb0EEEEDaS14_S15_EUlS14_E_NS1_11comp_targetILNS1_3genE0ELNS1_11target_archE4294967295ELNS1_3gpuE0ELNS1_3repE0EEENS1_30default_config_static_selectorELNS0_4arch9wavefront6targetE1EEEvT1_
	.globl	_ZN7rocprim17ROCPRIM_400000_NS6detail17trampoline_kernelINS0_14default_configENS1_25partition_config_selectorILNS1_17partition_subalgoE9EllbEEZZNS1_14partition_implILS5_9ELb0ES3_jPKlN6thrust23THRUST_200600_302600_NS17counting_iteratorIlNSB_11use_defaultESD_SD_EEPNS0_10empty_typeENS0_5tupleIJPlSF_EEENSH_IJSI_SG_EEENS0_18inequality_wrapperIN6hipcub16HIPCUB_304000_NS8EqualityEEESI_JSF_EEE10hipError_tPvRmT3_T4_T5_T6_T7_T9_mT8_P12ihipStream_tbDpT10_ENKUlT_T0_E_clISt17integral_constantIbLb1EES18_IbLb0EEEEDaS14_S15_EUlS14_E_NS1_11comp_targetILNS1_3genE0ELNS1_11target_archE4294967295ELNS1_3gpuE0ELNS1_3repE0EEENS1_30default_config_static_selectorELNS0_4arch9wavefront6targetE1EEEvT1_
	.p2align	8
	.type	_ZN7rocprim17ROCPRIM_400000_NS6detail17trampoline_kernelINS0_14default_configENS1_25partition_config_selectorILNS1_17partition_subalgoE9EllbEEZZNS1_14partition_implILS5_9ELb0ES3_jPKlN6thrust23THRUST_200600_302600_NS17counting_iteratorIlNSB_11use_defaultESD_SD_EEPNS0_10empty_typeENS0_5tupleIJPlSF_EEENSH_IJSI_SG_EEENS0_18inequality_wrapperIN6hipcub16HIPCUB_304000_NS8EqualityEEESI_JSF_EEE10hipError_tPvRmT3_T4_T5_T6_T7_T9_mT8_P12ihipStream_tbDpT10_ENKUlT_T0_E_clISt17integral_constantIbLb1EES18_IbLb0EEEEDaS14_S15_EUlS14_E_NS1_11comp_targetILNS1_3genE0ELNS1_11target_archE4294967295ELNS1_3gpuE0ELNS1_3repE0EEENS1_30default_config_static_selectorELNS0_4arch9wavefront6targetE1EEEvT1_,@function
_ZN7rocprim17ROCPRIM_400000_NS6detail17trampoline_kernelINS0_14default_configENS1_25partition_config_selectorILNS1_17partition_subalgoE9EllbEEZZNS1_14partition_implILS5_9ELb0ES3_jPKlN6thrust23THRUST_200600_302600_NS17counting_iteratorIlNSB_11use_defaultESD_SD_EEPNS0_10empty_typeENS0_5tupleIJPlSF_EEENSH_IJSI_SG_EEENS0_18inequality_wrapperIN6hipcub16HIPCUB_304000_NS8EqualityEEESI_JSF_EEE10hipError_tPvRmT3_T4_T5_T6_T7_T9_mT8_P12ihipStream_tbDpT10_ENKUlT_T0_E_clISt17integral_constantIbLb1EES18_IbLb0EEEEDaS14_S15_EUlS14_E_NS1_11comp_targetILNS1_3genE0ELNS1_11target_archE4294967295ELNS1_3gpuE0ELNS1_3repE0EEENS1_30default_config_static_selectorELNS0_4arch9wavefront6targetE1EEEvT1_: ; @_ZN7rocprim17ROCPRIM_400000_NS6detail17trampoline_kernelINS0_14default_configENS1_25partition_config_selectorILNS1_17partition_subalgoE9EllbEEZZNS1_14partition_implILS5_9ELb0ES3_jPKlN6thrust23THRUST_200600_302600_NS17counting_iteratorIlNSB_11use_defaultESD_SD_EEPNS0_10empty_typeENS0_5tupleIJPlSF_EEENSH_IJSI_SG_EEENS0_18inequality_wrapperIN6hipcub16HIPCUB_304000_NS8EqualityEEESI_JSF_EEE10hipError_tPvRmT3_T4_T5_T6_T7_T9_mT8_P12ihipStream_tbDpT10_ENKUlT_T0_E_clISt17integral_constantIbLb1EES18_IbLb0EEEEDaS14_S15_EUlS14_E_NS1_11comp_targetILNS1_3genE0ELNS1_11target_archE4294967295ELNS1_3gpuE0ELNS1_3repE0EEENS1_30default_config_static_selectorELNS0_4arch9wavefront6targetE1EEEvT1_
; %bb.0:
	.section	.rodata,"a",@progbits
	.p2align	6, 0x0
	.amdhsa_kernel _ZN7rocprim17ROCPRIM_400000_NS6detail17trampoline_kernelINS0_14default_configENS1_25partition_config_selectorILNS1_17partition_subalgoE9EllbEEZZNS1_14partition_implILS5_9ELb0ES3_jPKlN6thrust23THRUST_200600_302600_NS17counting_iteratorIlNSB_11use_defaultESD_SD_EEPNS0_10empty_typeENS0_5tupleIJPlSF_EEENSH_IJSI_SG_EEENS0_18inequality_wrapperIN6hipcub16HIPCUB_304000_NS8EqualityEEESI_JSF_EEE10hipError_tPvRmT3_T4_T5_T6_T7_T9_mT8_P12ihipStream_tbDpT10_ENKUlT_T0_E_clISt17integral_constantIbLb1EES18_IbLb0EEEEDaS14_S15_EUlS14_E_NS1_11comp_targetILNS1_3genE0ELNS1_11target_archE4294967295ELNS1_3gpuE0ELNS1_3repE0EEENS1_30default_config_static_selectorELNS0_4arch9wavefront6targetE1EEEvT1_
		.amdhsa_group_segment_fixed_size 0
		.amdhsa_private_segment_fixed_size 0
		.amdhsa_kernarg_size 112
		.amdhsa_user_sgpr_count 6
		.amdhsa_user_sgpr_private_segment_buffer 1
		.amdhsa_user_sgpr_dispatch_ptr 0
		.amdhsa_user_sgpr_queue_ptr 0
		.amdhsa_user_sgpr_kernarg_segment_ptr 1
		.amdhsa_user_sgpr_dispatch_id 0
		.amdhsa_user_sgpr_flat_scratch_init 0
		.amdhsa_user_sgpr_kernarg_preload_length 0
		.amdhsa_user_sgpr_kernarg_preload_offset 0
		.amdhsa_user_sgpr_private_segment_size 0
		.amdhsa_uses_dynamic_stack 0
		.amdhsa_system_sgpr_private_segment_wavefront_offset 0
		.amdhsa_system_sgpr_workgroup_id_x 1
		.amdhsa_system_sgpr_workgroup_id_y 0
		.amdhsa_system_sgpr_workgroup_id_z 0
		.amdhsa_system_sgpr_workgroup_info 0
		.amdhsa_system_vgpr_workitem_id 0
		.amdhsa_next_free_vgpr 1
		.amdhsa_next_free_sgpr 0
		.amdhsa_accum_offset 4
		.amdhsa_reserve_vcc 0
		.amdhsa_reserve_flat_scratch 0
		.amdhsa_float_round_mode_32 0
		.amdhsa_float_round_mode_16_64 0
		.amdhsa_float_denorm_mode_32 3
		.amdhsa_float_denorm_mode_16_64 3
		.amdhsa_dx10_clamp 1
		.amdhsa_ieee_mode 1
		.amdhsa_fp16_overflow 0
		.amdhsa_tg_split 0
		.amdhsa_exception_fp_ieee_invalid_op 0
		.amdhsa_exception_fp_denorm_src 0
		.amdhsa_exception_fp_ieee_div_zero 0
		.amdhsa_exception_fp_ieee_overflow 0
		.amdhsa_exception_fp_ieee_underflow 0
		.amdhsa_exception_fp_ieee_inexact 0
		.amdhsa_exception_int_div_zero 0
	.end_amdhsa_kernel
	.section	.text._ZN7rocprim17ROCPRIM_400000_NS6detail17trampoline_kernelINS0_14default_configENS1_25partition_config_selectorILNS1_17partition_subalgoE9EllbEEZZNS1_14partition_implILS5_9ELb0ES3_jPKlN6thrust23THRUST_200600_302600_NS17counting_iteratorIlNSB_11use_defaultESD_SD_EEPNS0_10empty_typeENS0_5tupleIJPlSF_EEENSH_IJSI_SG_EEENS0_18inequality_wrapperIN6hipcub16HIPCUB_304000_NS8EqualityEEESI_JSF_EEE10hipError_tPvRmT3_T4_T5_T6_T7_T9_mT8_P12ihipStream_tbDpT10_ENKUlT_T0_E_clISt17integral_constantIbLb1EES18_IbLb0EEEEDaS14_S15_EUlS14_E_NS1_11comp_targetILNS1_3genE0ELNS1_11target_archE4294967295ELNS1_3gpuE0ELNS1_3repE0EEENS1_30default_config_static_selectorELNS0_4arch9wavefront6targetE1EEEvT1_,"axG",@progbits,_ZN7rocprim17ROCPRIM_400000_NS6detail17trampoline_kernelINS0_14default_configENS1_25partition_config_selectorILNS1_17partition_subalgoE9EllbEEZZNS1_14partition_implILS5_9ELb0ES3_jPKlN6thrust23THRUST_200600_302600_NS17counting_iteratorIlNSB_11use_defaultESD_SD_EEPNS0_10empty_typeENS0_5tupleIJPlSF_EEENSH_IJSI_SG_EEENS0_18inequality_wrapperIN6hipcub16HIPCUB_304000_NS8EqualityEEESI_JSF_EEE10hipError_tPvRmT3_T4_T5_T6_T7_T9_mT8_P12ihipStream_tbDpT10_ENKUlT_T0_E_clISt17integral_constantIbLb1EES18_IbLb0EEEEDaS14_S15_EUlS14_E_NS1_11comp_targetILNS1_3genE0ELNS1_11target_archE4294967295ELNS1_3gpuE0ELNS1_3repE0EEENS1_30default_config_static_selectorELNS0_4arch9wavefront6targetE1EEEvT1_,comdat
.Lfunc_end60:
	.size	_ZN7rocprim17ROCPRIM_400000_NS6detail17trampoline_kernelINS0_14default_configENS1_25partition_config_selectorILNS1_17partition_subalgoE9EllbEEZZNS1_14partition_implILS5_9ELb0ES3_jPKlN6thrust23THRUST_200600_302600_NS17counting_iteratorIlNSB_11use_defaultESD_SD_EEPNS0_10empty_typeENS0_5tupleIJPlSF_EEENSH_IJSI_SG_EEENS0_18inequality_wrapperIN6hipcub16HIPCUB_304000_NS8EqualityEEESI_JSF_EEE10hipError_tPvRmT3_T4_T5_T6_T7_T9_mT8_P12ihipStream_tbDpT10_ENKUlT_T0_E_clISt17integral_constantIbLb1EES18_IbLb0EEEEDaS14_S15_EUlS14_E_NS1_11comp_targetILNS1_3genE0ELNS1_11target_archE4294967295ELNS1_3gpuE0ELNS1_3repE0EEENS1_30default_config_static_selectorELNS0_4arch9wavefront6targetE1EEEvT1_, .Lfunc_end60-_ZN7rocprim17ROCPRIM_400000_NS6detail17trampoline_kernelINS0_14default_configENS1_25partition_config_selectorILNS1_17partition_subalgoE9EllbEEZZNS1_14partition_implILS5_9ELb0ES3_jPKlN6thrust23THRUST_200600_302600_NS17counting_iteratorIlNSB_11use_defaultESD_SD_EEPNS0_10empty_typeENS0_5tupleIJPlSF_EEENSH_IJSI_SG_EEENS0_18inequality_wrapperIN6hipcub16HIPCUB_304000_NS8EqualityEEESI_JSF_EEE10hipError_tPvRmT3_T4_T5_T6_T7_T9_mT8_P12ihipStream_tbDpT10_ENKUlT_T0_E_clISt17integral_constantIbLb1EES18_IbLb0EEEEDaS14_S15_EUlS14_E_NS1_11comp_targetILNS1_3genE0ELNS1_11target_archE4294967295ELNS1_3gpuE0ELNS1_3repE0EEENS1_30default_config_static_selectorELNS0_4arch9wavefront6targetE1EEEvT1_
                                        ; -- End function
	.section	.AMDGPU.csdata,"",@progbits
; Kernel info:
; codeLenInByte = 0
; NumSgprs: 4
; NumVgprs: 0
; NumAgprs: 0
; TotalNumVgprs: 0
; ScratchSize: 0
; MemoryBound: 0
; FloatMode: 240
; IeeeMode: 1
; LDSByteSize: 0 bytes/workgroup (compile time only)
; SGPRBlocks: 0
; VGPRBlocks: 0
; NumSGPRsForWavesPerEU: 4
; NumVGPRsForWavesPerEU: 1
; AccumOffset: 4
; Occupancy: 8
; WaveLimiterHint : 0
; COMPUTE_PGM_RSRC2:SCRATCH_EN: 0
; COMPUTE_PGM_RSRC2:USER_SGPR: 6
; COMPUTE_PGM_RSRC2:TRAP_HANDLER: 0
; COMPUTE_PGM_RSRC2:TGID_X_EN: 1
; COMPUTE_PGM_RSRC2:TGID_Y_EN: 0
; COMPUTE_PGM_RSRC2:TGID_Z_EN: 0
; COMPUTE_PGM_RSRC2:TIDIG_COMP_CNT: 0
; COMPUTE_PGM_RSRC3_GFX90A:ACCUM_OFFSET: 0
; COMPUTE_PGM_RSRC3_GFX90A:TG_SPLIT: 0
	.section	.text._ZN7rocprim17ROCPRIM_400000_NS6detail17trampoline_kernelINS0_14default_configENS1_25partition_config_selectorILNS1_17partition_subalgoE9EllbEEZZNS1_14partition_implILS5_9ELb0ES3_jPKlN6thrust23THRUST_200600_302600_NS17counting_iteratorIlNSB_11use_defaultESD_SD_EEPNS0_10empty_typeENS0_5tupleIJPlSF_EEENSH_IJSI_SG_EEENS0_18inequality_wrapperIN6hipcub16HIPCUB_304000_NS8EqualityEEESI_JSF_EEE10hipError_tPvRmT3_T4_T5_T6_T7_T9_mT8_P12ihipStream_tbDpT10_ENKUlT_T0_E_clISt17integral_constantIbLb1EES18_IbLb0EEEEDaS14_S15_EUlS14_E_NS1_11comp_targetILNS1_3genE5ELNS1_11target_archE942ELNS1_3gpuE9ELNS1_3repE0EEENS1_30default_config_static_selectorELNS0_4arch9wavefront6targetE1EEEvT1_,"axG",@progbits,_ZN7rocprim17ROCPRIM_400000_NS6detail17trampoline_kernelINS0_14default_configENS1_25partition_config_selectorILNS1_17partition_subalgoE9EllbEEZZNS1_14partition_implILS5_9ELb0ES3_jPKlN6thrust23THRUST_200600_302600_NS17counting_iteratorIlNSB_11use_defaultESD_SD_EEPNS0_10empty_typeENS0_5tupleIJPlSF_EEENSH_IJSI_SG_EEENS0_18inequality_wrapperIN6hipcub16HIPCUB_304000_NS8EqualityEEESI_JSF_EEE10hipError_tPvRmT3_T4_T5_T6_T7_T9_mT8_P12ihipStream_tbDpT10_ENKUlT_T0_E_clISt17integral_constantIbLb1EES18_IbLb0EEEEDaS14_S15_EUlS14_E_NS1_11comp_targetILNS1_3genE5ELNS1_11target_archE942ELNS1_3gpuE9ELNS1_3repE0EEENS1_30default_config_static_selectorELNS0_4arch9wavefront6targetE1EEEvT1_,comdat
	.protected	_ZN7rocprim17ROCPRIM_400000_NS6detail17trampoline_kernelINS0_14default_configENS1_25partition_config_selectorILNS1_17partition_subalgoE9EllbEEZZNS1_14partition_implILS5_9ELb0ES3_jPKlN6thrust23THRUST_200600_302600_NS17counting_iteratorIlNSB_11use_defaultESD_SD_EEPNS0_10empty_typeENS0_5tupleIJPlSF_EEENSH_IJSI_SG_EEENS0_18inequality_wrapperIN6hipcub16HIPCUB_304000_NS8EqualityEEESI_JSF_EEE10hipError_tPvRmT3_T4_T5_T6_T7_T9_mT8_P12ihipStream_tbDpT10_ENKUlT_T0_E_clISt17integral_constantIbLb1EES18_IbLb0EEEEDaS14_S15_EUlS14_E_NS1_11comp_targetILNS1_3genE5ELNS1_11target_archE942ELNS1_3gpuE9ELNS1_3repE0EEENS1_30default_config_static_selectorELNS0_4arch9wavefront6targetE1EEEvT1_ ; -- Begin function _ZN7rocprim17ROCPRIM_400000_NS6detail17trampoline_kernelINS0_14default_configENS1_25partition_config_selectorILNS1_17partition_subalgoE9EllbEEZZNS1_14partition_implILS5_9ELb0ES3_jPKlN6thrust23THRUST_200600_302600_NS17counting_iteratorIlNSB_11use_defaultESD_SD_EEPNS0_10empty_typeENS0_5tupleIJPlSF_EEENSH_IJSI_SG_EEENS0_18inequality_wrapperIN6hipcub16HIPCUB_304000_NS8EqualityEEESI_JSF_EEE10hipError_tPvRmT3_T4_T5_T6_T7_T9_mT8_P12ihipStream_tbDpT10_ENKUlT_T0_E_clISt17integral_constantIbLb1EES18_IbLb0EEEEDaS14_S15_EUlS14_E_NS1_11comp_targetILNS1_3genE5ELNS1_11target_archE942ELNS1_3gpuE9ELNS1_3repE0EEENS1_30default_config_static_selectorELNS0_4arch9wavefront6targetE1EEEvT1_
	.globl	_ZN7rocprim17ROCPRIM_400000_NS6detail17trampoline_kernelINS0_14default_configENS1_25partition_config_selectorILNS1_17partition_subalgoE9EllbEEZZNS1_14partition_implILS5_9ELb0ES3_jPKlN6thrust23THRUST_200600_302600_NS17counting_iteratorIlNSB_11use_defaultESD_SD_EEPNS0_10empty_typeENS0_5tupleIJPlSF_EEENSH_IJSI_SG_EEENS0_18inequality_wrapperIN6hipcub16HIPCUB_304000_NS8EqualityEEESI_JSF_EEE10hipError_tPvRmT3_T4_T5_T6_T7_T9_mT8_P12ihipStream_tbDpT10_ENKUlT_T0_E_clISt17integral_constantIbLb1EES18_IbLb0EEEEDaS14_S15_EUlS14_E_NS1_11comp_targetILNS1_3genE5ELNS1_11target_archE942ELNS1_3gpuE9ELNS1_3repE0EEENS1_30default_config_static_selectorELNS0_4arch9wavefront6targetE1EEEvT1_
	.p2align	8
	.type	_ZN7rocprim17ROCPRIM_400000_NS6detail17trampoline_kernelINS0_14default_configENS1_25partition_config_selectorILNS1_17partition_subalgoE9EllbEEZZNS1_14partition_implILS5_9ELb0ES3_jPKlN6thrust23THRUST_200600_302600_NS17counting_iteratorIlNSB_11use_defaultESD_SD_EEPNS0_10empty_typeENS0_5tupleIJPlSF_EEENSH_IJSI_SG_EEENS0_18inequality_wrapperIN6hipcub16HIPCUB_304000_NS8EqualityEEESI_JSF_EEE10hipError_tPvRmT3_T4_T5_T6_T7_T9_mT8_P12ihipStream_tbDpT10_ENKUlT_T0_E_clISt17integral_constantIbLb1EES18_IbLb0EEEEDaS14_S15_EUlS14_E_NS1_11comp_targetILNS1_3genE5ELNS1_11target_archE942ELNS1_3gpuE9ELNS1_3repE0EEENS1_30default_config_static_selectorELNS0_4arch9wavefront6targetE1EEEvT1_,@function
_ZN7rocprim17ROCPRIM_400000_NS6detail17trampoline_kernelINS0_14default_configENS1_25partition_config_selectorILNS1_17partition_subalgoE9EllbEEZZNS1_14partition_implILS5_9ELb0ES3_jPKlN6thrust23THRUST_200600_302600_NS17counting_iteratorIlNSB_11use_defaultESD_SD_EEPNS0_10empty_typeENS0_5tupleIJPlSF_EEENSH_IJSI_SG_EEENS0_18inequality_wrapperIN6hipcub16HIPCUB_304000_NS8EqualityEEESI_JSF_EEE10hipError_tPvRmT3_T4_T5_T6_T7_T9_mT8_P12ihipStream_tbDpT10_ENKUlT_T0_E_clISt17integral_constantIbLb1EES18_IbLb0EEEEDaS14_S15_EUlS14_E_NS1_11comp_targetILNS1_3genE5ELNS1_11target_archE942ELNS1_3gpuE9ELNS1_3repE0EEENS1_30default_config_static_selectorELNS0_4arch9wavefront6targetE1EEEvT1_: ; @_ZN7rocprim17ROCPRIM_400000_NS6detail17trampoline_kernelINS0_14default_configENS1_25partition_config_selectorILNS1_17partition_subalgoE9EllbEEZZNS1_14partition_implILS5_9ELb0ES3_jPKlN6thrust23THRUST_200600_302600_NS17counting_iteratorIlNSB_11use_defaultESD_SD_EEPNS0_10empty_typeENS0_5tupleIJPlSF_EEENSH_IJSI_SG_EEENS0_18inequality_wrapperIN6hipcub16HIPCUB_304000_NS8EqualityEEESI_JSF_EEE10hipError_tPvRmT3_T4_T5_T6_T7_T9_mT8_P12ihipStream_tbDpT10_ENKUlT_T0_E_clISt17integral_constantIbLb1EES18_IbLb0EEEEDaS14_S15_EUlS14_E_NS1_11comp_targetILNS1_3genE5ELNS1_11target_archE942ELNS1_3gpuE9ELNS1_3repE0EEENS1_30default_config_static_selectorELNS0_4arch9wavefront6targetE1EEEvT1_
; %bb.0:
	.section	.rodata,"a",@progbits
	.p2align	6, 0x0
	.amdhsa_kernel _ZN7rocprim17ROCPRIM_400000_NS6detail17trampoline_kernelINS0_14default_configENS1_25partition_config_selectorILNS1_17partition_subalgoE9EllbEEZZNS1_14partition_implILS5_9ELb0ES3_jPKlN6thrust23THRUST_200600_302600_NS17counting_iteratorIlNSB_11use_defaultESD_SD_EEPNS0_10empty_typeENS0_5tupleIJPlSF_EEENSH_IJSI_SG_EEENS0_18inequality_wrapperIN6hipcub16HIPCUB_304000_NS8EqualityEEESI_JSF_EEE10hipError_tPvRmT3_T4_T5_T6_T7_T9_mT8_P12ihipStream_tbDpT10_ENKUlT_T0_E_clISt17integral_constantIbLb1EES18_IbLb0EEEEDaS14_S15_EUlS14_E_NS1_11comp_targetILNS1_3genE5ELNS1_11target_archE942ELNS1_3gpuE9ELNS1_3repE0EEENS1_30default_config_static_selectorELNS0_4arch9wavefront6targetE1EEEvT1_
		.amdhsa_group_segment_fixed_size 0
		.amdhsa_private_segment_fixed_size 0
		.amdhsa_kernarg_size 112
		.amdhsa_user_sgpr_count 6
		.amdhsa_user_sgpr_private_segment_buffer 1
		.amdhsa_user_sgpr_dispatch_ptr 0
		.amdhsa_user_sgpr_queue_ptr 0
		.amdhsa_user_sgpr_kernarg_segment_ptr 1
		.amdhsa_user_sgpr_dispatch_id 0
		.amdhsa_user_sgpr_flat_scratch_init 0
		.amdhsa_user_sgpr_kernarg_preload_length 0
		.amdhsa_user_sgpr_kernarg_preload_offset 0
		.amdhsa_user_sgpr_private_segment_size 0
		.amdhsa_uses_dynamic_stack 0
		.amdhsa_system_sgpr_private_segment_wavefront_offset 0
		.amdhsa_system_sgpr_workgroup_id_x 1
		.amdhsa_system_sgpr_workgroup_id_y 0
		.amdhsa_system_sgpr_workgroup_id_z 0
		.amdhsa_system_sgpr_workgroup_info 0
		.amdhsa_system_vgpr_workitem_id 0
		.amdhsa_next_free_vgpr 1
		.amdhsa_next_free_sgpr 0
		.amdhsa_accum_offset 4
		.amdhsa_reserve_vcc 0
		.amdhsa_reserve_flat_scratch 0
		.amdhsa_float_round_mode_32 0
		.amdhsa_float_round_mode_16_64 0
		.amdhsa_float_denorm_mode_32 3
		.amdhsa_float_denorm_mode_16_64 3
		.amdhsa_dx10_clamp 1
		.amdhsa_ieee_mode 1
		.amdhsa_fp16_overflow 0
		.amdhsa_tg_split 0
		.amdhsa_exception_fp_ieee_invalid_op 0
		.amdhsa_exception_fp_denorm_src 0
		.amdhsa_exception_fp_ieee_div_zero 0
		.amdhsa_exception_fp_ieee_overflow 0
		.amdhsa_exception_fp_ieee_underflow 0
		.amdhsa_exception_fp_ieee_inexact 0
		.amdhsa_exception_int_div_zero 0
	.end_amdhsa_kernel
	.section	.text._ZN7rocprim17ROCPRIM_400000_NS6detail17trampoline_kernelINS0_14default_configENS1_25partition_config_selectorILNS1_17partition_subalgoE9EllbEEZZNS1_14partition_implILS5_9ELb0ES3_jPKlN6thrust23THRUST_200600_302600_NS17counting_iteratorIlNSB_11use_defaultESD_SD_EEPNS0_10empty_typeENS0_5tupleIJPlSF_EEENSH_IJSI_SG_EEENS0_18inequality_wrapperIN6hipcub16HIPCUB_304000_NS8EqualityEEESI_JSF_EEE10hipError_tPvRmT3_T4_T5_T6_T7_T9_mT8_P12ihipStream_tbDpT10_ENKUlT_T0_E_clISt17integral_constantIbLb1EES18_IbLb0EEEEDaS14_S15_EUlS14_E_NS1_11comp_targetILNS1_3genE5ELNS1_11target_archE942ELNS1_3gpuE9ELNS1_3repE0EEENS1_30default_config_static_selectorELNS0_4arch9wavefront6targetE1EEEvT1_,"axG",@progbits,_ZN7rocprim17ROCPRIM_400000_NS6detail17trampoline_kernelINS0_14default_configENS1_25partition_config_selectorILNS1_17partition_subalgoE9EllbEEZZNS1_14partition_implILS5_9ELb0ES3_jPKlN6thrust23THRUST_200600_302600_NS17counting_iteratorIlNSB_11use_defaultESD_SD_EEPNS0_10empty_typeENS0_5tupleIJPlSF_EEENSH_IJSI_SG_EEENS0_18inequality_wrapperIN6hipcub16HIPCUB_304000_NS8EqualityEEESI_JSF_EEE10hipError_tPvRmT3_T4_T5_T6_T7_T9_mT8_P12ihipStream_tbDpT10_ENKUlT_T0_E_clISt17integral_constantIbLb1EES18_IbLb0EEEEDaS14_S15_EUlS14_E_NS1_11comp_targetILNS1_3genE5ELNS1_11target_archE942ELNS1_3gpuE9ELNS1_3repE0EEENS1_30default_config_static_selectorELNS0_4arch9wavefront6targetE1EEEvT1_,comdat
.Lfunc_end61:
	.size	_ZN7rocprim17ROCPRIM_400000_NS6detail17trampoline_kernelINS0_14default_configENS1_25partition_config_selectorILNS1_17partition_subalgoE9EllbEEZZNS1_14partition_implILS5_9ELb0ES3_jPKlN6thrust23THRUST_200600_302600_NS17counting_iteratorIlNSB_11use_defaultESD_SD_EEPNS0_10empty_typeENS0_5tupleIJPlSF_EEENSH_IJSI_SG_EEENS0_18inequality_wrapperIN6hipcub16HIPCUB_304000_NS8EqualityEEESI_JSF_EEE10hipError_tPvRmT3_T4_T5_T6_T7_T9_mT8_P12ihipStream_tbDpT10_ENKUlT_T0_E_clISt17integral_constantIbLb1EES18_IbLb0EEEEDaS14_S15_EUlS14_E_NS1_11comp_targetILNS1_3genE5ELNS1_11target_archE942ELNS1_3gpuE9ELNS1_3repE0EEENS1_30default_config_static_selectorELNS0_4arch9wavefront6targetE1EEEvT1_, .Lfunc_end61-_ZN7rocprim17ROCPRIM_400000_NS6detail17trampoline_kernelINS0_14default_configENS1_25partition_config_selectorILNS1_17partition_subalgoE9EllbEEZZNS1_14partition_implILS5_9ELb0ES3_jPKlN6thrust23THRUST_200600_302600_NS17counting_iteratorIlNSB_11use_defaultESD_SD_EEPNS0_10empty_typeENS0_5tupleIJPlSF_EEENSH_IJSI_SG_EEENS0_18inequality_wrapperIN6hipcub16HIPCUB_304000_NS8EqualityEEESI_JSF_EEE10hipError_tPvRmT3_T4_T5_T6_T7_T9_mT8_P12ihipStream_tbDpT10_ENKUlT_T0_E_clISt17integral_constantIbLb1EES18_IbLb0EEEEDaS14_S15_EUlS14_E_NS1_11comp_targetILNS1_3genE5ELNS1_11target_archE942ELNS1_3gpuE9ELNS1_3repE0EEENS1_30default_config_static_selectorELNS0_4arch9wavefront6targetE1EEEvT1_
                                        ; -- End function
	.section	.AMDGPU.csdata,"",@progbits
; Kernel info:
; codeLenInByte = 0
; NumSgprs: 4
; NumVgprs: 0
; NumAgprs: 0
; TotalNumVgprs: 0
; ScratchSize: 0
; MemoryBound: 0
; FloatMode: 240
; IeeeMode: 1
; LDSByteSize: 0 bytes/workgroup (compile time only)
; SGPRBlocks: 0
; VGPRBlocks: 0
; NumSGPRsForWavesPerEU: 4
; NumVGPRsForWavesPerEU: 1
; AccumOffset: 4
; Occupancy: 8
; WaveLimiterHint : 0
; COMPUTE_PGM_RSRC2:SCRATCH_EN: 0
; COMPUTE_PGM_RSRC2:USER_SGPR: 6
; COMPUTE_PGM_RSRC2:TRAP_HANDLER: 0
; COMPUTE_PGM_RSRC2:TGID_X_EN: 1
; COMPUTE_PGM_RSRC2:TGID_Y_EN: 0
; COMPUTE_PGM_RSRC2:TGID_Z_EN: 0
; COMPUTE_PGM_RSRC2:TIDIG_COMP_CNT: 0
; COMPUTE_PGM_RSRC3_GFX90A:ACCUM_OFFSET: 0
; COMPUTE_PGM_RSRC3_GFX90A:TG_SPLIT: 0
	.section	.text._ZN7rocprim17ROCPRIM_400000_NS6detail17trampoline_kernelINS0_14default_configENS1_25partition_config_selectorILNS1_17partition_subalgoE9EllbEEZZNS1_14partition_implILS5_9ELb0ES3_jPKlN6thrust23THRUST_200600_302600_NS17counting_iteratorIlNSB_11use_defaultESD_SD_EEPNS0_10empty_typeENS0_5tupleIJPlSF_EEENSH_IJSI_SG_EEENS0_18inequality_wrapperIN6hipcub16HIPCUB_304000_NS8EqualityEEESI_JSF_EEE10hipError_tPvRmT3_T4_T5_T6_T7_T9_mT8_P12ihipStream_tbDpT10_ENKUlT_T0_E_clISt17integral_constantIbLb1EES18_IbLb0EEEEDaS14_S15_EUlS14_E_NS1_11comp_targetILNS1_3genE4ELNS1_11target_archE910ELNS1_3gpuE8ELNS1_3repE0EEENS1_30default_config_static_selectorELNS0_4arch9wavefront6targetE1EEEvT1_,"axG",@progbits,_ZN7rocprim17ROCPRIM_400000_NS6detail17trampoline_kernelINS0_14default_configENS1_25partition_config_selectorILNS1_17partition_subalgoE9EllbEEZZNS1_14partition_implILS5_9ELb0ES3_jPKlN6thrust23THRUST_200600_302600_NS17counting_iteratorIlNSB_11use_defaultESD_SD_EEPNS0_10empty_typeENS0_5tupleIJPlSF_EEENSH_IJSI_SG_EEENS0_18inequality_wrapperIN6hipcub16HIPCUB_304000_NS8EqualityEEESI_JSF_EEE10hipError_tPvRmT3_T4_T5_T6_T7_T9_mT8_P12ihipStream_tbDpT10_ENKUlT_T0_E_clISt17integral_constantIbLb1EES18_IbLb0EEEEDaS14_S15_EUlS14_E_NS1_11comp_targetILNS1_3genE4ELNS1_11target_archE910ELNS1_3gpuE8ELNS1_3repE0EEENS1_30default_config_static_selectorELNS0_4arch9wavefront6targetE1EEEvT1_,comdat
	.protected	_ZN7rocprim17ROCPRIM_400000_NS6detail17trampoline_kernelINS0_14default_configENS1_25partition_config_selectorILNS1_17partition_subalgoE9EllbEEZZNS1_14partition_implILS5_9ELb0ES3_jPKlN6thrust23THRUST_200600_302600_NS17counting_iteratorIlNSB_11use_defaultESD_SD_EEPNS0_10empty_typeENS0_5tupleIJPlSF_EEENSH_IJSI_SG_EEENS0_18inequality_wrapperIN6hipcub16HIPCUB_304000_NS8EqualityEEESI_JSF_EEE10hipError_tPvRmT3_T4_T5_T6_T7_T9_mT8_P12ihipStream_tbDpT10_ENKUlT_T0_E_clISt17integral_constantIbLb1EES18_IbLb0EEEEDaS14_S15_EUlS14_E_NS1_11comp_targetILNS1_3genE4ELNS1_11target_archE910ELNS1_3gpuE8ELNS1_3repE0EEENS1_30default_config_static_selectorELNS0_4arch9wavefront6targetE1EEEvT1_ ; -- Begin function _ZN7rocprim17ROCPRIM_400000_NS6detail17trampoline_kernelINS0_14default_configENS1_25partition_config_selectorILNS1_17partition_subalgoE9EllbEEZZNS1_14partition_implILS5_9ELb0ES3_jPKlN6thrust23THRUST_200600_302600_NS17counting_iteratorIlNSB_11use_defaultESD_SD_EEPNS0_10empty_typeENS0_5tupleIJPlSF_EEENSH_IJSI_SG_EEENS0_18inequality_wrapperIN6hipcub16HIPCUB_304000_NS8EqualityEEESI_JSF_EEE10hipError_tPvRmT3_T4_T5_T6_T7_T9_mT8_P12ihipStream_tbDpT10_ENKUlT_T0_E_clISt17integral_constantIbLb1EES18_IbLb0EEEEDaS14_S15_EUlS14_E_NS1_11comp_targetILNS1_3genE4ELNS1_11target_archE910ELNS1_3gpuE8ELNS1_3repE0EEENS1_30default_config_static_selectorELNS0_4arch9wavefront6targetE1EEEvT1_
	.globl	_ZN7rocprim17ROCPRIM_400000_NS6detail17trampoline_kernelINS0_14default_configENS1_25partition_config_selectorILNS1_17partition_subalgoE9EllbEEZZNS1_14partition_implILS5_9ELb0ES3_jPKlN6thrust23THRUST_200600_302600_NS17counting_iteratorIlNSB_11use_defaultESD_SD_EEPNS0_10empty_typeENS0_5tupleIJPlSF_EEENSH_IJSI_SG_EEENS0_18inequality_wrapperIN6hipcub16HIPCUB_304000_NS8EqualityEEESI_JSF_EEE10hipError_tPvRmT3_T4_T5_T6_T7_T9_mT8_P12ihipStream_tbDpT10_ENKUlT_T0_E_clISt17integral_constantIbLb1EES18_IbLb0EEEEDaS14_S15_EUlS14_E_NS1_11comp_targetILNS1_3genE4ELNS1_11target_archE910ELNS1_3gpuE8ELNS1_3repE0EEENS1_30default_config_static_selectorELNS0_4arch9wavefront6targetE1EEEvT1_
	.p2align	8
	.type	_ZN7rocprim17ROCPRIM_400000_NS6detail17trampoline_kernelINS0_14default_configENS1_25partition_config_selectorILNS1_17partition_subalgoE9EllbEEZZNS1_14partition_implILS5_9ELb0ES3_jPKlN6thrust23THRUST_200600_302600_NS17counting_iteratorIlNSB_11use_defaultESD_SD_EEPNS0_10empty_typeENS0_5tupleIJPlSF_EEENSH_IJSI_SG_EEENS0_18inequality_wrapperIN6hipcub16HIPCUB_304000_NS8EqualityEEESI_JSF_EEE10hipError_tPvRmT3_T4_T5_T6_T7_T9_mT8_P12ihipStream_tbDpT10_ENKUlT_T0_E_clISt17integral_constantIbLb1EES18_IbLb0EEEEDaS14_S15_EUlS14_E_NS1_11comp_targetILNS1_3genE4ELNS1_11target_archE910ELNS1_3gpuE8ELNS1_3repE0EEENS1_30default_config_static_selectorELNS0_4arch9wavefront6targetE1EEEvT1_,@function
_ZN7rocprim17ROCPRIM_400000_NS6detail17trampoline_kernelINS0_14default_configENS1_25partition_config_selectorILNS1_17partition_subalgoE9EllbEEZZNS1_14partition_implILS5_9ELb0ES3_jPKlN6thrust23THRUST_200600_302600_NS17counting_iteratorIlNSB_11use_defaultESD_SD_EEPNS0_10empty_typeENS0_5tupleIJPlSF_EEENSH_IJSI_SG_EEENS0_18inequality_wrapperIN6hipcub16HIPCUB_304000_NS8EqualityEEESI_JSF_EEE10hipError_tPvRmT3_T4_T5_T6_T7_T9_mT8_P12ihipStream_tbDpT10_ENKUlT_T0_E_clISt17integral_constantIbLb1EES18_IbLb0EEEEDaS14_S15_EUlS14_E_NS1_11comp_targetILNS1_3genE4ELNS1_11target_archE910ELNS1_3gpuE8ELNS1_3repE0EEENS1_30default_config_static_selectorELNS0_4arch9wavefront6targetE1EEEvT1_: ; @_ZN7rocprim17ROCPRIM_400000_NS6detail17trampoline_kernelINS0_14default_configENS1_25partition_config_selectorILNS1_17partition_subalgoE9EllbEEZZNS1_14partition_implILS5_9ELb0ES3_jPKlN6thrust23THRUST_200600_302600_NS17counting_iteratorIlNSB_11use_defaultESD_SD_EEPNS0_10empty_typeENS0_5tupleIJPlSF_EEENSH_IJSI_SG_EEENS0_18inequality_wrapperIN6hipcub16HIPCUB_304000_NS8EqualityEEESI_JSF_EEE10hipError_tPvRmT3_T4_T5_T6_T7_T9_mT8_P12ihipStream_tbDpT10_ENKUlT_T0_E_clISt17integral_constantIbLb1EES18_IbLb0EEEEDaS14_S15_EUlS14_E_NS1_11comp_targetILNS1_3genE4ELNS1_11target_archE910ELNS1_3gpuE8ELNS1_3repE0EEENS1_30default_config_static_selectorELNS0_4arch9wavefront6targetE1EEEvT1_
; %bb.0:
	s_load_dwordx2 s[14:15], s[4:5], 0x50
	s_load_dwordx4 s[20:23], s[4:5], 0x40
	s_load_dwordx4 s[0:3], s[4:5], 0x8
	s_load_dwordx2 s[10:11], s[4:5], 0x18
	s_load_dword s13, s[4:5], 0x68
	s_waitcnt lgkmcnt(0)
	v_mov_b32_e32 v3, s15
	v_mov_b32_e32 v2, s14
	s_lshl_b64 s[8:9], s[2:3], 3
	s_add_u32 s15, s0, s8
	s_addc_u32 s24, s1, s9
	s_add_i32 s8, s13, -1
	s_lshl_b32 s0, s8, 9
	s_lshl_b32 s12, s6, 9
	s_add_i32 s7, s2, s0
	s_lshl_b32 s0, s13, 9
	s_add_u32 s0, s2, s0
	s_addc_u32 s1, s3, 0
	s_cmp_eq_u32 s6, s8
	s_load_dwordx2 s[18:19], s[22:23], 0x0
	v_cmp_ge_u64_e32 vcc, s[0:1], v[2:3]
	s_cselect_b64 s[22:23], -1, 0
	s_mov_b32 s13, 0
	s_and_b64 s[8:9], s[22:23], vcc
	s_xor_b64 s[28:29], s[8:9], -1
	s_lshl_b64 s[0:1], s[12:13], 3
	s_add_u32 s0, s15, s0
	s_mov_b64 s[16:17], -1
	s_addc_u32 s1, s24, s1
	s_and_b64 vcc, exec, s[28:29]
	v_lshrrev_b32_e32 v1, 2, v0
	s_cbranch_vccz .LBB62_2
; %bb.1:
	v_lshlrev_b32_e32 v10, 3, v0
	global_load_dwordx2 v[2:3], v10, s[0:1]
	global_load_dwordx2 v[4:5], v10, s[0:1] offset:1024
	global_load_dwordx2 v[6:7], v10, s[0:1] offset:2048
	;; [unrolled: 1-line block ×3, first 2 shown]
	v_or_b32_e32 v12, 0x80, v0
	v_or_b32_e32 v13, 0x100, v0
	;; [unrolled: 1-line block ×3, first 2 shown]
	v_and_b32_e32 v11, 24, v1
	v_lshrrev_b32_e32 v12, 2, v12
	v_lshrrev_b32_e32 v13, 2, v13
	;; [unrolled: 1-line block ×3, first 2 shown]
	v_add_u32_e32 v11, v11, v10
	v_and_b32_e32 v12, 56, v12
	v_and_b32_e32 v13, 0x58, v13
	;; [unrolled: 1-line block ×3, first 2 shown]
	v_mov_b32_e32 v19, 0
	v_add_u32_e32 v12, v12, v10
	v_add_u32_e32 v13, v13, v10
	;; [unrolled: 1-line block ×3, first 2 shown]
	s_waitcnt vmcnt(3)
	ds_write_b64 v11, v[2:3]
	s_waitcnt vmcnt(2)
	ds_write_b64 v12, v[4:5] offset:1024
	s_waitcnt vmcnt(1)
	ds_write_b64 v13, v[6:7] offset:2048
	s_waitcnt vmcnt(0)
	ds_write_b64 v10, v[8:9] offset:3072
	s_waitcnt lgkmcnt(0)
	s_barrier
	s_load_dwordx2 s[30:31], s[4:5], 0x60
	s_sub_i32 s7, s14, s7
	s_cbranch_execz .LBB62_3
	s_branch .LBB62_14
.LBB62_2:
                                        ; implicit-def: $vgpr18_vgpr19
	s_load_dwordx2 s[30:31], s[4:5], 0x60
	s_andn2_b64 vcc, exec, s[16:17]
	s_sub_i32 s7, s14, s7
	s_cbranch_vccnz .LBB62_14
.LBB62_3:
	v_cmp_gt_u32_e32 vcc, s7, v0
                                        ; implicit-def: $vgpr2_vgpr3_vgpr4_vgpr5_vgpr6_vgpr7_vgpr8_vgpr9
	s_and_saveexec_b64 s[14:15], vcc
	s_cbranch_execz .LBB62_5
; %bb.4:
	v_lshlrev_b32_e32 v2, 3, v0
	global_load_dwordx2 v[2:3], v2, s[0:1]
.LBB62_5:
	s_or_b64 exec, exec, s[14:15]
	v_or_b32_e32 v10, 0x80, v0
	v_cmp_gt_u32_e32 vcc, s7, v10
	s_and_saveexec_b64 s[14:15], vcc
	s_cbranch_execz .LBB62_7
; %bb.6:
	v_lshlrev_b32_e32 v4, 3, v0
	global_load_dwordx2 v[4:5], v4, s[0:1] offset:1024
.LBB62_7:
	s_or_b64 exec, exec, s[14:15]
	v_or_b32_e32 v11, 0x100, v0
	v_cmp_gt_u32_e32 vcc, s7, v11
	s_and_saveexec_b64 s[14:15], vcc
	s_cbranch_execz .LBB62_9
; %bb.8:
	v_lshlrev_b32_e32 v6, 3, v0
	global_load_dwordx2 v[6:7], v6, s[0:1] offset:2048
.LBB62_9:
	s_or_b64 exec, exec, s[14:15]
	v_or_b32_e32 v12, 0x180, v0
	v_cmp_le_u32_e32 vcc, s7, v12
	s_and_saveexec_b64 s[14:15], vcc
	s_xor_b64 s[14:15], exec, s[14:15]
                                        ; implicit-def: $vgpr18_vgpr19
; %bb.10:
	v_mov_b32_e32 v19, 0
; %bb.11:
	s_andn2_saveexec_b64 s[14:15], s[14:15]
	s_cbranch_execz .LBB62_13
; %bb.12:
	v_lshlrev_b32_e32 v8, 3, v0
	global_load_dwordx2 v[8:9], v8, s[0:1] offset:3072
	v_mov_b32_e32 v19, 0
.LBB62_13:
	s_or_b64 exec, exec, s[14:15]
	v_and_b32_e32 v13, 24, v1
	v_lshlrev_b32_e32 v14, 3, v0
	v_add_u32_e32 v13, v13, v14
	s_waitcnt vmcnt(0)
	ds_write_b64 v13, v[2:3]
	v_lshrrev_b32_e32 v2, 2, v10
	v_and_b32_e32 v2, 56, v2
	v_add_u32_e32 v2, v2, v14
	ds_write_b64 v2, v[4:5] offset:1024
	v_lshrrev_b32_e32 v2, 2, v11
	v_and_b32_e32 v2, 0x78, v2
	v_add_u32_e32 v2, v2, v14
	ds_write_b64 v2, v[6:7] offset:2048
	;; [unrolled: 4-line block ×3, first 2 shown]
	s_waitcnt lgkmcnt(0)
	s_barrier
.LBB62_14:
	s_load_dwordx4 s[24:27], s[4:5], 0x28
	v_lshlrev_b32_e32 v29, 2, v0
	v_lshrrev_b32_e32 v2, 3, v0
	s_add_u32 s4, s2, s12
	v_add_lshl_u32 v4, v2, v29, 3
	s_addc_u32 s5, s3, 0
	s_waitcnt lgkmcnt(0)
	ds_read2_b64 v[14:17], v4 offset1:1
	ds_read2_b64 v[10:13], v4 offset0:2 offset1:3
	s_add_u32 s10, s4, s10
	s_addc_u32 s11, s5, s11
	v_mov_b32_e32 v3, s11
	v_add_co_u32_e32 v2, vcc, s10, v0
	v_addc_co_u32_e32 v3, vcc, v19, v3, vcc
	s_mov_b64 s[4:5], -1
	s_and_b64 vcc, exec, s[28:29]
	s_waitcnt lgkmcnt(0)
	s_barrier
	s_cbranch_vccz .LBB62_16
; %bb.15:
	v_and_b32_e32 v5, 24, v1
	v_lshlrev_b32_e32 v20, 3, v0
	v_add_u32_e32 v5, v5, v20
	ds_write_b64 v5, v[2:3]
	v_or_b32_e32 v5, 0x80, v0
	v_lshrrev_b32_e32 v5, 2, v5
	v_add_co_u32_e32 v6, vcc, 0x80, v2
	v_and_b32_e32 v5, 56, v5
	v_addc_co_u32_e32 v7, vcc, 0, v3, vcc
	v_add_u32_e32 v5, v5, v20
	ds_write_b64 v5, v[6:7] offset:1024
	v_or_b32_e32 v5, 0x100, v0
	v_lshrrev_b32_e32 v5, 2, v5
	v_add_co_u32_e32 v8, vcc, 0x100, v2
	v_and_b32_e32 v5, 0x58, v5
	v_addc_co_u32_e32 v9, vcc, 0, v3, vcc
	v_add_u32_e32 v5, v5, v20
	ds_write_b64 v5, v[8:9] offset:2048
	;; [unrolled: 7-line block ×3, first 2 shown]
	s_waitcnt lgkmcnt(0)
	s_barrier
	s_mov_b64 s[4:5], 0
.LBB62_16:
	s_andn2_b64 vcc, exec, s[4:5]
	s_cbranch_vccnz .LBB62_18
; %bb.17:
	v_and_b32_e32 v1, 24, v1
	v_lshlrev_b32_e32 v22, 3, v0
	v_or_b32_e32 v5, 0x80, v0
	v_add_u32_e32 v1, v1, v22
	ds_write_b64 v1, v[2:3]
	v_lshrrev_b32_e32 v1, 2, v5
	v_mov_b32_e32 v7, s11
	v_add_co_u32_e32 v6, vcc, s10, v5
	v_and_b32_e32 v1, 56, v1
	v_addc_co_u32_e32 v7, vcc, 0, v7, vcc
	v_or_b32_e32 v20, 0x100, v0
	v_add_u32_e32 v1, v1, v22
	ds_write_b64 v1, v[6:7] offset:1024
	v_lshrrev_b32_e32 v1, 2, v20
	v_mov_b32_e32 v9, s11
	v_add_co_u32_e32 v8, vcc, s10, v20
	v_and_b32_e32 v1, 0x58, v1
	v_addc_co_u32_e32 v9, vcc, 0, v9, vcc
	v_or_b32_e32 v21, 0x180, v0
	v_add_u32_e32 v1, v1, v22
	ds_write_b64 v1, v[8:9] offset:2048
	v_lshrrev_b32_e32 v1, 2, v21
	v_mov_b32_e32 v19, s11
	v_add_co_u32_e32 v18, vcc, s10, v21
	v_and_b32_e32 v1, 0x78, v1
	v_addc_co_u32_e32 v19, vcc, 0, v19, vcc
	v_add_u32_e32 v1, v1, v22
	ds_write_b64 v1, v[18:19] offset:3072
	s_waitcnt lgkmcnt(0)
	s_barrier
.LBB62_18:
	ds_read2_b64 v[6:9], v4 offset1:1
	ds_read2_b64 v[2:5], v4 offset0:2 offset1:3
	s_cmp_lg_u32 s6, 0
	s_cselect_b64 s[14:15], -1, 0
	s_cmp_lg_u64 s[2:3], 0
	s_cselect_b64 s[2:3], -1, 0
	s_or_b64 s[2:3], s[14:15], s[2:3]
	s_mov_b64 s[10:11], 0
	s_and_b64 vcc, exec, s[2:3]
	s_waitcnt lgkmcnt(0)
	s_barrier
	s_cbranch_vccz .LBB62_23
; %bb.19:
	s_add_u32 s0, s0, -8
	s_addc_u32 s1, s1, -1
	s_load_dwordx2 s[2:3], s[0:1], 0x0
	v_lshlrev_b32_e32 v20, 3, v0
	s_and_b64 vcc, exec, s[28:29]
	ds_write_b64 v20, v[12:13]
	s_cbranch_vccz .LBB62_24
; %bb.20:
	v_cmp_ne_u32_e32 vcc, 0, v0
	s_waitcnt lgkmcnt(0)
	v_pk_mov_b32 v[18:19], s[2:3], s[2:3] op_sel:[0,1]
	s_barrier
	s_and_saveexec_b64 s[0:1], vcc
	s_cbranch_execz .LBB62_22
; %bb.21:
	v_add_u32_e32 v1, -8, v20
	ds_read_b64 v[18:19], v1
.LBB62_22:
	s_or_b64 exec, exec, s[0:1]
	v_cmp_ne_u64_e32 vcc, v[10:11], v[12:13]
	v_cndmask_b32_e64 v1, 0, 1, vcc
	v_cmp_ne_u64_e32 vcc, v[16:17], v[10:11]
	v_cndmask_b32_e64 v21, 0, 1, vcc
	;; [unrolled: 2-line block ×3, first 2 shown]
	v_lshlrev_b16_e32 v1, 8, v1
	v_or_b32_sdwa v1, v21, v1 dst_sel:WORD_1 dst_unused:UNUSED_PAD src0_sel:DWORD src1_sel:DWORD
	v_lshlrev_b16_e32 v21, 8, v22
	v_or_b32_e32 v1, v21, v1
	s_waitcnt lgkmcnt(0)
	v_cmp_ne_u64_e64 s[0:1], v[18:19], v[14:15]
	s_branch .LBB62_28
.LBB62_23:
                                        ; implicit-def: $sgpr0_sgpr1
                                        ; implicit-def: $vgpr1
	s_branch .LBB62_29
.LBB62_24:
                                        ; implicit-def: $sgpr0_sgpr1
                                        ; implicit-def: $vgpr1
	s_cbranch_execz .LBB62_28
; %bb.25:
	v_cmp_ne_u32_e32 vcc, 0, v0
	s_waitcnt lgkmcnt(0)
	v_pk_mov_b32 v[18:19], s[2:3], s[2:3] op_sel:[0,1]
	s_barrier
	s_and_saveexec_b64 s[0:1], vcc
	s_cbranch_execz .LBB62_27
; %bb.26:
	v_add_u32_e32 v1, -8, v20
	ds_read_b64 v[18:19], v1
.LBB62_27:
	s_or_b64 exec, exec, s[0:1]
	v_or_b32_e32 v1, 3, v29
	v_cmp_gt_u32_e32 vcc, s7, v1
	v_cmp_ne_u64_e64 s[0:1], v[10:11], v[12:13]
	s_and_b64 s[0:1], vcc, s[0:1]
	v_or_b32_e32 v20, 2, v29
	v_cndmask_b32_e64 v1, 0, 1, s[0:1]
	v_cmp_gt_u32_e32 vcc, s7, v20
	v_cmp_ne_u64_e64 s[0:1], v[16:17], v[10:11]
	s_and_b64 s[0:1], vcc, s[0:1]
	v_or_b32_e32 v21, 1, v29
	v_cndmask_b32_e64 v20, 0, 1, s[0:1]
	v_cmp_gt_u32_e32 vcc, s7, v21
	v_cmp_ne_u64_e64 s[0:1], v[14:15], v[16:17]
	s_and_b64 s[0:1], vcc, s[0:1]
	v_cndmask_b32_e64 v21, 0, 1, s[0:1]
	v_lshlrev_b16_e32 v1, 8, v1
	v_or_b32_sdwa v1, v20, v1 dst_sel:WORD_1 dst_unused:UNUSED_PAD src0_sel:DWORD src1_sel:DWORD
	v_lshlrev_b16_e32 v20, 8, v21
	v_cmp_gt_u32_e32 vcc, s7, v29
	s_waitcnt lgkmcnt(0)
	v_cmp_ne_u64_e64 s[0:1], v[18:19], v[14:15]
	v_or_b32_e32 v1, v20, v1
	s_and_b64 s[0:1], vcc, s[0:1]
.LBB62_28:
	s_waitcnt lgkmcnt(0)
	s_mov_b64 s[10:11], -1
	s_cbranch_execnz .LBB62_37
.LBB62_29:
	v_lshlrev_b32_e32 v18, 3, v0
	s_and_b64 vcc, exec, s[28:29]
	v_cmp_ne_u64_e64 s[0:1], v[10:11], v[12:13]
	v_cmp_ne_u64_e64 s[2:3], v[16:17], v[10:11]
	;; [unrolled: 1-line block ×3, first 2 shown]
	ds_write_b64 v18, v[12:13]
	s_cbranch_vccz .LBB62_33
; %bb.30:
	v_cndmask_b32_e64 v1, 0, 1, s[0:1]
	v_cndmask_b32_e64 v19, 0, 1, s[2:3]
	;; [unrolled: 1-line block ×3, first 2 shown]
	v_lshlrev_b16_e32 v1, 8, v1
	v_or_b32_sdwa v1, v19, v1 dst_sel:WORD_1 dst_unused:UNUSED_PAD src0_sel:DWORD src1_sel:DWORD
	v_lshlrev_b16_e32 v19, 8, v20
	v_or_b32_e32 v19, 1, v19
	v_or_b32_sdwa v1, v19, v1 dst_sel:DWORD dst_unused:UNUSED_PAD src0_sel:WORD_0 src1_sel:DWORD
	v_cmp_ne_u32_e32 vcc, 0, v0
	s_waitcnt lgkmcnt(0)
	s_barrier
	s_waitcnt lgkmcnt(0)
                                        ; implicit-def: $sgpr0_sgpr1
	s_and_saveexec_b64 s[2:3], vcc
	s_xor_b64 s[2:3], exec, s[2:3]
	s_cbranch_execz .LBB62_32
; %bb.31:
	v_add_u32_e32 v19, -8, v18
	ds_read_b64 v[20:21], v19
	s_or_b64 s[10:11], s[10:11], exec
	s_waitcnt lgkmcnt(0)
	v_cmp_ne_u64_e32 vcc, v[20:21], v[14:15]
	s_and_b64 s[0:1], vcc, exec
.LBB62_32:
	s_or_b64 exec, exec, s[2:3]
	s_branch .LBB62_37
.LBB62_33:
                                        ; implicit-def: $sgpr0_sgpr1
                                        ; implicit-def: $vgpr1
	s_cbranch_execz .LBB62_37
; %bb.34:
	v_or_b32_e32 v1, 3, v29
	v_cmp_gt_u32_e32 vcc, s7, v1
	v_cmp_ne_u64_e64 s[0:1], v[10:11], v[12:13]
	s_and_b64 s[0:1], vcc, s[0:1]
	v_or_b32_e32 v19, 2, v29
	v_cndmask_b32_e64 v1, 0, 1, s[0:1]
	v_cmp_gt_u32_e32 vcc, s7, v19
	v_cmp_ne_u64_e64 s[0:1], v[16:17], v[10:11]
	s_and_b64 s[0:1], vcc, s[0:1]
	v_or_b32_e32 v20, 1, v29
	v_cndmask_b32_e64 v19, 0, 1, s[0:1]
	v_cmp_gt_u32_e32 vcc, s7, v20
	v_cmp_ne_u64_e64 s[0:1], v[14:15], v[16:17]
	s_and_b64 s[0:1], vcc, s[0:1]
	v_cndmask_b32_e64 v20, 0, 1, s[0:1]
	v_lshlrev_b16_e32 v1, 8, v1
	v_or_b32_sdwa v1, v19, v1 dst_sel:WORD_1 dst_unused:UNUSED_PAD src0_sel:DWORD src1_sel:DWORD
	v_lshlrev_b16_e32 v19, 8, v20
	v_or_b32_e32 v19, 1, v19
	v_or_b32_sdwa v1, v19, v1 dst_sel:DWORD dst_unused:UNUSED_PAD src0_sel:WORD_0 src1_sel:DWORD
	v_cmp_ne_u32_e32 vcc, 0, v0
	s_waitcnt lgkmcnt(0)
	s_barrier
	s_waitcnt lgkmcnt(0)
                                        ; implicit-def: $sgpr0_sgpr1
	s_and_saveexec_b64 s[2:3], vcc
	s_cbranch_execz .LBB62_36
; %bb.35:
	v_add_u32_e32 v18, -8, v18
	ds_read_b64 v[18:19], v18
	v_cmp_gt_u32_e32 vcc, s7, v29
	s_or_b64 s[10:11], s[10:11], exec
	s_waitcnt lgkmcnt(0)
	v_cmp_ne_u64_e64 s[0:1], v[18:19], v[14:15]
	s_and_b64 s[0:1], vcc, s[0:1]
	s_and_b64 s[0:1], s[0:1], exec
.LBB62_36:
	s_or_b64 exec, exec, s[2:3]
.LBB62_37:
	s_and_saveexec_b64 s[2:3], s[10:11]
; %bb.38:
	v_and_b32_e32 v18, 0xffffff00, v1
	v_cndmask_b32_e64 v19, 0, 1, s[0:1]
	v_or_b32_e32 v18, v19, v18
	v_and_b32_e32 v18, 0xffff, v18
	s_mov_b32 s0, 0xffff0000
	v_and_or_b32 v1, v1, s0, v18
; %bb.39:
	s_or_b64 exec, exec, s[2:3]
	s_andn2_b64 vcc, exec, s[8:9]
	s_cbranch_vccnz .LBB62_41
; %bb.40:
	v_cmp_gt_u32_e32 vcc, s7, v29
	v_cndmask_b32_e32 v18, 0, v1, vcc
	v_or_b32_e32 v19, 1, v29
	v_and_b32_e32 v18, 0xff, v18
	v_cmp_gt_u32_e32 vcc, s7, v19
	v_cndmask_b32_e32 v18, v18, v1, vcc
	v_or_b32_e32 v19, 2, v29
	v_and_b32_e32 v18, 0xffff, v18
	;; [unrolled: 4-line block ×3, first 2 shown]
	v_cmp_gt_u32_e32 vcc, s7, v19
	v_cndmask_b32_e32 v1, v18, v1, vcc
.LBB62_41:
	v_bfe_u32 v30, v1, 16, 8
	v_lshrrev_b32_e32 v28, 24, v1
	v_add_u32_sdwa v18, v1, v1 dst_sel:DWORD dst_unused:UNUSED_PAD src0_sel:BYTE_1 src1_sel:BYTE_0
	v_add3_u32 v33, v18, v30, v28
	v_mbcnt_lo_u32_b32 v18, -1, 0
	v_mbcnt_hi_u32_b32 v31, -1, v18
	v_and_b32_e32 v18, 15, v31
	v_cmp_eq_u32_e64 s[12:13], 0, v18
	v_cmp_lt_u32_e64 s[10:11], 1, v18
	v_cmp_lt_u32_e64 s[8:9], 3, v18
	;; [unrolled: 1-line block ×3, first 2 shown]
	v_and_b32_e32 v18, 16, v31
	v_cmp_eq_u32_e64 s[4:5], 0, v18
	v_or_b32_e32 v18, 63, v0
	v_cmp_lt_u32_e64 s[0:1], 31, v31
	v_lshrrev_b32_e32 v32, 6, v0
	v_cmp_eq_u32_e64 s[2:3], v18, v0
	s_and_b64 vcc, exec, s[14:15]
	s_waitcnt lgkmcnt(0)
	s_barrier
	s_cbranch_vccz .LBB62_72
; %bb.42:
	v_mov_b32_dpp v18, v33 row_shr:1 row_mask:0xf bank_mask:0xf
	v_cndmask_b32_e64 v18, v18, 0, s[12:13]
	v_add_u32_e32 v18, v18, v33
	s_nop 1
	v_mov_b32_dpp v19, v18 row_shr:2 row_mask:0xf bank_mask:0xf
	v_cndmask_b32_e64 v19, 0, v19, s[10:11]
	v_add_u32_e32 v18, v18, v19
	s_nop 1
	;; [unrolled: 4-line block ×4, first 2 shown]
	v_mov_b32_dpp v19, v18 row_bcast:15 row_mask:0xf bank_mask:0xf
	v_cndmask_b32_e64 v19, v19, 0, s[4:5]
	v_add_u32_e32 v18, v18, v19
	s_nop 1
	v_mov_b32_dpp v19, v18 row_bcast:31 row_mask:0xf bank_mask:0xf
	v_cndmask_b32_e64 v19, 0, v19, s[0:1]
	v_add_u32_e32 v18, v18, v19
	s_and_saveexec_b64 s[14:15], s[2:3]
	s_cbranch_execz .LBB62_44
; %bb.43:
	v_lshlrev_b32_e32 v19, 2, v32
	ds_write_b32 v19, v18
.LBB62_44:
	s_or_b64 exec, exec, s[14:15]
	v_cmp_gt_u32_e32 vcc, 2, v0
	s_waitcnt lgkmcnt(0)
	s_barrier
	s_and_saveexec_b64 s[14:15], vcc
	s_cbranch_execz .LBB62_46
; %bb.45:
	ds_read_b32 v19, v29
	v_bfe_i32 v20, v31, 0, 1
	s_waitcnt lgkmcnt(0)
	v_mov_b32_dpp v21, v19 row_shr:1 row_mask:0xf bank_mask:0xf
	v_and_b32_e32 v20, v20, v21
	v_add_u32_e32 v19, v20, v19
	ds_write_b32 v29, v19
.LBB62_46:
	s_or_b64 exec, exec, s[14:15]
	v_cmp_gt_u32_e32 vcc, 64, v0
	v_cmp_lt_u32_e64 s[14:15], 63, v0
	s_waitcnt lgkmcnt(0)
	s_barrier
	s_waitcnt lgkmcnt(0)
                                        ; implicit-def: $vgpr34
	s_and_saveexec_b64 s[34:35], s[14:15]
	s_cbranch_execz .LBB62_48
; %bb.47:
	v_lshl_add_u32 v19, v32, 2, -4
	ds_read_b32 v34, v19
	s_waitcnt lgkmcnt(0)
	v_add_u32_e32 v18, v34, v18
.LBB62_48:
	s_or_b64 exec, exec, s[34:35]
	v_add_u32_e32 v19, -1, v31
	v_and_b32_e32 v20, 64, v31
	v_cmp_lt_i32_e64 s[14:15], v19, v20
	v_cndmask_b32_e64 v19, v19, v31, s[14:15]
	v_lshlrev_b32_e32 v19, 2, v19
	ds_bpermute_b32 v35, v19, v18
	v_cmp_eq_u32_e64 s[14:15], 0, v31
	s_and_saveexec_b64 s[34:35], vcc
	s_cbranch_execz .LBB62_71
; %bb.49:
	v_mov_b32_e32 v27, 0
	ds_read_b32 v18, v27 offset:4
	s_and_saveexec_b64 s[36:37], s[14:15]
	s_cbranch_execz .LBB62_51
; %bb.50:
	s_add_i32 s38, s6, 64
	s_mov_b32 s39, 0
	s_lshl_b64 s[38:39], s[38:39], 3
	s_add_u32 s38, s30, s38
	v_mov_b32_e32 v19, 1
	s_addc_u32 s39, s31, s39
	s_waitcnt lgkmcnt(0)
	global_store_dwordx2 v27, v[18:19], s[38:39]
.LBB62_51:
	s_or_b64 exec, exec, s[36:37]
	v_xad_u32 v20, v31, -1, s6
	v_add_u32_e32 v26, 64, v20
	v_lshlrev_b64 v[22:23], 3, v[26:27]
	v_mov_b32_e32 v19, s31
	v_add_co_u32_e32 v22, vcc, s30, v22
	v_addc_co_u32_e32 v23, vcc, v19, v23, vcc
	global_load_dwordx2 v[24:25], v[22:23], off glc
	s_waitcnt vmcnt(0)
	v_cmp_eq_u16_sdwa s[38:39], v25, v27 src0_sel:BYTE_0 src1_sel:DWORD
	s_and_saveexec_b64 s[36:37], s[38:39]
	s_cbranch_execz .LBB62_57
; %bb.52:
	s_mov_b32 s7, 1
	s_mov_b64 s[38:39], 0
	v_mov_b32_e32 v19, 0
.LBB62_53:                              ; =>This Loop Header: Depth=1
                                        ;     Child Loop BB62_54 Depth 2
	s_max_u32 s33, s7, 1
.LBB62_54:                              ;   Parent Loop BB62_53 Depth=1
                                        ; =>  This Inner Loop Header: Depth=2
	s_add_i32 s33, s33, -1
	s_cmp_eq_u32 s33, 0
	s_sleep 1
	s_cbranch_scc0 .LBB62_54
; %bb.55:                               ;   in Loop: Header=BB62_53 Depth=1
	global_load_dwordx2 v[24:25], v[22:23], off glc
	s_cmp_lt_u32 s7, 32
	s_cselect_b64 s[40:41], -1, 0
	s_cmp_lg_u64 s[40:41], 0
	s_addc_u32 s7, s7, 0
	s_waitcnt vmcnt(0)
	v_cmp_ne_u16_sdwa s[40:41], v25, v19 src0_sel:BYTE_0 src1_sel:DWORD
	s_or_b64 s[38:39], s[40:41], s[38:39]
	s_andn2_b64 exec, exec, s[38:39]
	s_cbranch_execnz .LBB62_53
; %bb.56:
	s_or_b64 exec, exec, s[38:39]
.LBB62_57:
	s_or_b64 exec, exec, s[36:37]
	v_and_b32_e32 v37, 63, v31
	v_mov_b32_e32 v36, 2
	v_cmp_ne_u32_e32 vcc, 63, v37
	v_cmp_eq_u16_sdwa s[36:37], v25, v36 src0_sel:BYTE_0 src1_sel:DWORD
	v_lshlrev_b64 v[22:23], v31, -1
	v_addc_co_u32_e32 v26, vcc, 0, v31, vcc
	v_and_b32_e32 v19, s37, v23
	v_lshlrev_b32_e32 v38, 2, v26
	v_or_b32_e32 v19, 0x80000000, v19
	ds_bpermute_b32 v26, v38, v24
	v_and_b32_e32 v21, s36, v22
	v_ffbl_b32_e32 v19, v19
	v_add_u32_e32 v19, 32, v19
	v_ffbl_b32_e32 v21, v21
	v_min_u32_e32 v19, v21, v19
	v_cmp_lt_u32_e32 vcc, v37, v19
	s_waitcnt lgkmcnt(0)
	v_cndmask_b32_e32 v21, 0, v26, vcc
	v_cmp_gt_u32_e32 vcc, 62, v37
	v_add_u32_e32 v21, v21, v24
	v_cndmask_b32_e64 v24, 0, 1, vcc
	v_lshlrev_b32_e32 v24, 1, v24
	v_add_lshl_u32 v39, v24, v31, 2
	ds_bpermute_b32 v24, v39, v21
	v_add_u32_e32 v40, 2, v37
	v_cmp_le_u32_e32 vcc, v40, v19
	v_add_u32_e32 v42, 4, v37
	v_add_u32_e32 v44, 8, v37
	s_waitcnt lgkmcnt(0)
	v_cndmask_b32_e32 v24, 0, v24, vcc
	v_cmp_gt_u32_e32 vcc, 60, v37
	v_add_u32_e32 v21, v21, v24
	v_cndmask_b32_e64 v24, 0, 1, vcc
	v_lshlrev_b32_e32 v24, 2, v24
	v_add_lshl_u32 v41, v24, v31, 2
	ds_bpermute_b32 v24, v41, v21
	v_cmp_le_u32_e32 vcc, v42, v19
	v_add_u32_e32 v46, 16, v37
	v_add_u32_e32 v48, 32, v37
	s_waitcnt lgkmcnt(0)
	v_cndmask_b32_e32 v24, 0, v24, vcc
	v_cmp_gt_u32_e32 vcc, 56, v37
	v_add_u32_e32 v21, v21, v24
	v_cndmask_b32_e64 v24, 0, 1, vcc
	v_lshlrev_b32_e32 v24, 3, v24
	v_add_lshl_u32 v43, v24, v31, 2
	ds_bpermute_b32 v24, v43, v21
	v_cmp_le_u32_e32 vcc, v44, v19
	s_waitcnt lgkmcnt(0)
	v_cndmask_b32_e32 v24, 0, v24, vcc
	v_cmp_gt_u32_e32 vcc, 48, v37
	v_add_u32_e32 v21, v21, v24
	v_cndmask_b32_e64 v24, 0, 1, vcc
	v_lshlrev_b32_e32 v24, 4, v24
	v_add_lshl_u32 v45, v24, v31, 2
	ds_bpermute_b32 v24, v45, v21
	v_cmp_le_u32_e32 vcc, v46, v19
	;; [unrolled: 9-line block ×3, first 2 shown]
	s_waitcnt lgkmcnt(0)
	v_cndmask_b32_e32 v19, 0, v24, vcc
	v_add_u32_e32 v24, v21, v19
	v_mov_b32_e32 v21, 0
	s_branch .LBB62_59
.LBB62_58:                              ;   in Loop: Header=BB62_59 Depth=1
	s_or_b64 exec, exec, s[36:37]
	v_cmp_eq_u16_sdwa s[36:37], v25, v36 src0_sel:BYTE_0 src1_sel:DWORD
	v_and_b32_e32 v26, s37, v23
	v_or_b32_e32 v26, 0x80000000, v26
	ds_bpermute_b32 v49, v38, v24
	v_and_b32_e32 v27, s36, v22
	v_ffbl_b32_e32 v26, v26
	v_add_u32_e32 v26, 32, v26
	v_ffbl_b32_e32 v27, v27
	v_min_u32_e32 v26, v27, v26
	v_cmp_lt_u32_e32 vcc, v37, v26
	s_waitcnt lgkmcnt(0)
	v_cndmask_b32_e32 v27, 0, v49, vcc
	v_add_u32_e32 v24, v27, v24
	ds_bpermute_b32 v27, v39, v24
	v_cmp_le_u32_e32 vcc, v40, v26
	v_subrev_u32_e32 v20, 64, v20
	s_waitcnt lgkmcnt(0)
	v_cndmask_b32_e32 v27, 0, v27, vcc
	v_add_u32_e32 v24, v24, v27
	ds_bpermute_b32 v27, v41, v24
	v_cmp_le_u32_e32 vcc, v42, v26
	s_waitcnt lgkmcnt(0)
	v_cndmask_b32_e32 v27, 0, v27, vcc
	v_add_u32_e32 v24, v24, v27
	ds_bpermute_b32 v27, v43, v24
	v_cmp_le_u32_e32 vcc, v44, v26
	;; [unrolled: 5-line block ×4, first 2 shown]
	s_waitcnt lgkmcnt(0)
	v_cndmask_b32_e32 v26, 0, v27, vcc
	v_add3_u32 v24, v26, v19, v24
.LBB62_59:                              ; =>This Loop Header: Depth=1
                                        ;     Child Loop BB62_62 Depth 2
                                        ;       Child Loop BB62_63 Depth 3
	v_cmp_ne_u16_sdwa s[36:37], v25, v36 src0_sel:BYTE_0 src1_sel:DWORD
	v_cndmask_b32_e64 v19, 0, 1, s[36:37]
	;;#ASMSTART
	;;#ASMEND
	v_cmp_ne_u32_e32 vcc, 0, v19
	s_cmp_lg_u64 vcc, exec
	v_mov_b32_e32 v19, v24
	s_cbranch_scc1 .LBB62_66
; %bb.60:                               ;   in Loop: Header=BB62_59 Depth=1
	v_lshlrev_b64 v[24:25], 3, v[20:21]
	v_mov_b32_e32 v27, s31
	v_add_co_u32_e32 v26, vcc, s30, v24
	v_addc_co_u32_e32 v27, vcc, v27, v25, vcc
	global_load_dwordx2 v[24:25], v[26:27], off glc
	s_waitcnt vmcnt(0)
	v_cmp_eq_u16_sdwa s[38:39], v25, v21 src0_sel:BYTE_0 src1_sel:DWORD
	s_and_saveexec_b64 s[36:37], s[38:39]
	s_cbranch_execz .LBB62_58
; %bb.61:                               ;   in Loop: Header=BB62_59 Depth=1
	s_mov_b32 s7, 1
	s_mov_b64 s[38:39], 0
.LBB62_62:                              ;   Parent Loop BB62_59 Depth=1
                                        ; =>  This Loop Header: Depth=2
                                        ;       Child Loop BB62_63 Depth 3
	s_max_u32 s33, s7, 1
.LBB62_63:                              ;   Parent Loop BB62_59 Depth=1
                                        ;     Parent Loop BB62_62 Depth=2
                                        ; =>    This Inner Loop Header: Depth=3
	s_add_i32 s33, s33, -1
	s_cmp_eq_u32 s33, 0
	s_sleep 1
	s_cbranch_scc0 .LBB62_63
; %bb.64:                               ;   in Loop: Header=BB62_62 Depth=2
	global_load_dwordx2 v[24:25], v[26:27], off glc
	s_cmp_lt_u32 s7, 32
	s_cselect_b64 s[40:41], -1, 0
	s_cmp_lg_u64 s[40:41], 0
	s_addc_u32 s7, s7, 0
	s_waitcnt vmcnt(0)
	v_cmp_ne_u16_sdwa s[40:41], v25, v21 src0_sel:BYTE_0 src1_sel:DWORD
	s_or_b64 s[38:39], s[40:41], s[38:39]
	s_andn2_b64 exec, exec, s[38:39]
	s_cbranch_execnz .LBB62_62
; %bb.65:                               ;   in Loop: Header=BB62_59 Depth=1
	s_or_b64 exec, exec, s[38:39]
	s_branch .LBB62_58
.LBB62_66:                              ;   in Loop: Header=BB62_59 Depth=1
                                        ; implicit-def: $vgpr24
                                        ; implicit-def: $vgpr25
	s_cbranch_execz .LBB62_59
; %bb.67:
	s_and_saveexec_b64 s[36:37], s[14:15]
	s_cbranch_execz .LBB62_69
; %bb.68:
	s_add_i32 s6, s6, 64
	s_mov_b32 s7, 0
	s_lshl_b64 s[6:7], s[6:7], 3
	s_add_u32 s6, s30, s6
	v_add_u32_e32 v20, v19, v18
	v_mov_b32_e32 v21, 2
	s_addc_u32 s7, s31, s7
	v_mov_b32_e32 v22, 0
	global_store_dwordx2 v22, v[20:21], s[6:7]
	ds_write_b64 v22, v[18:19] offset:4224
.LBB62_69:
	s_or_b64 exec, exec, s[36:37]
	v_cmp_eq_u32_e32 vcc, 0, v0
	s_and_b64 exec, exec, vcc
	s_cbranch_execz .LBB62_71
; %bb.70:
	v_mov_b32_e32 v18, 0
	ds_write_b32 v18, v19 offset:4
.LBB62_71:
	s_or_b64 exec, exec, s[34:35]
	v_mov_b32_e32 v19, 0
	s_waitcnt lgkmcnt(0)
	s_barrier
	ds_read_b32 v20, v19 offset:4
	v_cndmask_b32_e64 v18, v35, v34, s[14:15]
	v_cmp_ne_u32_e32 vcc, 0, v0
	s_waitcnt lgkmcnt(0)
	s_barrier
	ds_read_b64 v[26:27], v19 offset:4224
	v_cndmask_b32_e32 v18, 0, v18, vcc
	v_add_u32_e32 v24, v20, v18
	v_add_u32_sdwa v22, v24, v1 dst_sel:DWORD dst_unused:UNUSED_PAD src0_sel:DWORD src1_sel:BYTE_0
	v_add_u32_sdwa v20, v22, v1 dst_sel:DWORD dst_unused:UNUSED_PAD src0_sel:DWORD src1_sel:BYTE_1
	v_add_u32_e32 v18, v20, v30
	s_waitcnt lgkmcnt(0)
	v_readfirstlane_b32 s33, v26
	v_readfirstlane_b32 s6, v27
	s_branch .LBB62_82
.LBB62_72:
                                        ; implicit-def: $sgpr6
                                        ; implicit-def: $sgpr33
                                        ; implicit-def: $vgpr18
                                        ; implicit-def: $vgpr20
                                        ; implicit-def: $vgpr22
                                        ; implicit-def: $vgpr24
	s_cbranch_execz .LBB62_82
; %bb.73:
	s_nop 0
	v_mov_b32_dpp v18, v33 row_shr:1 row_mask:0xf bank_mask:0xf
	v_cndmask_b32_e64 v18, v18, 0, s[12:13]
	v_add_u32_e32 v18, v18, v33
	s_nop 1
	v_mov_b32_dpp v19, v18 row_shr:2 row_mask:0xf bank_mask:0xf
	v_cndmask_b32_e64 v19, 0, v19, s[10:11]
	v_add_u32_e32 v18, v18, v19
	;; [unrolled: 4-line block ×4, first 2 shown]
	s_nop 1
	v_mov_b32_dpp v19, v18 row_bcast:15 row_mask:0xf bank_mask:0xf
	v_cndmask_b32_e64 v19, v19, 0, s[4:5]
	v_add_u32_e32 v18, v18, v19
	s_nop 1
	v_mov_b32_dpp v19, v18 row_bcast:31 row_mask:0xf bank_mask:0xf
	v_cndmask_b32_e64 v19, 0, v19, s[0:1]
	v_add_u32_e32 v18, v18, v19
	s_and_saveexec_b64 s[0:1], s[2:3]
	s_cbranch_execz .LBB62_75
; %bb.74:
	v_lshlrev_b32_e32 v19, 2, v32
	ds_write_b32 v19, v18
.LBB62_75:
	s_or_b64 exec, exec, s[0:1]
	v_cmp_gt_u32_e32 vcc, 2, v0
	s_waitcnt lgkmcnt(0)
	s_barrier
	s_and_saveexec_b64 s[0:1], vcc
	s_cbranch_execz .LBB62_77
; %bb.76:
	ds_read_b32 v19, v29
	v_bfe_i32 v20, v31, 0, 1
	s_waitcnt lgkmcnt(0)
	v_mov_b32_dpp v21, v19 row_shr:1 row_mask:0xf bank_mask:0xf
	v_and_b32_e32 v20, v20, v21
	v_add_u32_e32 v19, v20, v19
	ds_write_b32 v29, v19
.LBB62_77:
	s_or_b64 exec, exec, s[0:1]
	v_cmp_lt_u32_e32 vcc, 63, v0
	v_mov_b32_e32 v20, 0
	v_mov_b32_e32 v19, 0
	s_waitcnt lgkmcnt(0)
	s_barrier
	s_and_saveexec_b64 s[0:1], vcc
	s_cbranch_execz .LBB62_79
; %bb.78:
	v_lshl_add_u32 v19, v32, 2, -4
	ds_read_b32 v19, v19
.LBB62_79:
	s_or_b64 exec, exec, s[0:1]
	v_add_u32_e32 v21, -1, v31
	v_and_b32_e32 v22, 64, v31
	v_cmp_lt_i32_e32 vcc, v21, v22
	v_cndmask_b32_e32 v21, v21, v31, vcc
	s_waitcnt lgkmcnt(0)
	v_add_u32_e32 v18, v19, v18
	v_lshlrev_b32_e32 v21, 2, v21
	ds_read_b32 v20, v20 offset:4
	ds_bpermute_b32 v18, v21, v18
	s_mov_b32 s6, 0
	v_cmp_eq_u32_e32 vcc, 0, v0
	s_waitcnt lgkmcnt(1)
	v_readfirstlane_b32 s33, v20
	s_and_saveexec_b64 s[0:1], vcc
	s_cbranch_execz .LBB62_81
; %bb.80:
	v_mov_b32_e32 v22, 0
	v_mov_b32_e32 v20, s33
	;; [unrolled: 1-line block ×3, first 2 shown]
	global_store_dwordx2 v22, v[20:21], s[30:31] offset:512
.LBB62_81:
	s_or_b64 exec, exec, s[0:1]
	v_cmp_eq_u32_e64 s[0:1], 0, v31
	s_waitcnt lgkmcnt(0)
	v_cndmask_b32_e64 v18, v18, v19, s[0:1]
	v_cndmask_b32_e64 v24, v18, 0, vcc
	v_add_u32_sdwa v22, v24, v1 dst_sel:DWORD dst_unused:UNUSED_PAD src0_sel:DWORD src1_sel:BYTE_0
	v_add_u32_sdwa v20, v22, v1 dst_sel:DWORD dst_unused:UNUSED_PAD src0_sel:DWORD src1_sel:BYTE_1
	v_add_u32_e32 v18, v20, v30
	s_barrier
.LBB62_82:
	s_cmpk_lt_u32 s33, 0x81
	s_cselect_b64 s[2:3], -1, 0
	v_lshrrev_b32_e32 v26, 8, v1
	s_mov_b64 s[0:1], -1
	s_and_b64 vcc, exec, s[2:3]
	s_cbranch_vccz .LBB62_96
; %bb.83:
	s_add_i32 s4, s6, s33
	v_cmp_gt_u32_e32 vcc, s4, v24
	s_or_b64 s[8:9], s[28:29], vcc
	s_and_saveexec_b64 s[0:1], s[8:9]
	s_cbranch_execz .LBB62_86
; %bb.84:
	v_and_b32_e32 v19, 1, v1
	v_cmp_eq_u32_e32 vcc, 1, v19
	s_and_b64 exec, exec, vcc
	s_cbranch_execz .LBB62_86
; %bb.85:
	s_lshl_b64 s[8:9], s[18:19], 3
	s_add_u32 s5, s24, s8
	v_mov_b32_e32 v25, 0
	s_addc_u32 s7, s25, s9
	v_lshlrev_b64 v[30:31], 3, v[24:25]
	v_mov_b32_e32 v19, s7
	v_add_co_u32_e32 v30, vcc, s5, v30
	v_addc_co_u32_e32 v31, vcc, v19, v31, vcc
	global_store_dwordx2 v[30:31], v[14:15], off
.LBB62_86:
	s_or_b64 exec, exec, s[0:1]
	v_cmp_gt_u32_e32 vcc, s4, v22
	s_or_b64 s[8:9], s[28:29], vcc
	s_and_saveexec_b64 s[0:1], s[8:9]
	s_cbranch_execz .LBB62_89
; %bb.87:
	v_and_b32_e32 v19, 1, v26
	v_cmp_eq_u32_e32 vcc, 1, v19
	s_and_b64 exec, exec, vcc
	s_cbranch_execz .LBB62_89
; %bb.88:
	s_lshl_b64 s[8:9], s[18:19], 3
	s_add_u32 s5, s24, s8
	v_mov_b32_e32 v23, 0
	s_addc_u32 s7, s25, s9
	v_lshlrev_b64 v[30:31], 3, v[22:23]
	v_mov_b32_e32 v19, s7
	v_add_co_u32_e32 v30, vcc, s5, v30
	v_addc_co_u32_e32 v31, vcc, v19, v31, vcc
	global_store_dwordx2 v[30:31], v[16:17], off
.LBB62_89:
	s_or_b64 exec, exec, s[0:1]
	v_cmp_gt_u32_e32 vcc, s4, v20
	s_or_b64 s[8:9], s[28:29], vcc
	s_and_saveexec_b64 s[0:1], s[8:9]
	s_cbranch_execz .LBB62_92
; %bb.90:
	v_mov_b32_e32 v19, 1
	v_and_b32_sdwa v19, v19, v1 dst_sel:DWORD dst_unused:UNUSED_PAD src0_sel:DWORD src1_sel:WORD_1
	v_cmp_eq_u32_e32 vcc, 1, v19
	s_and_b64 exec, exec, vcc
	s_cbranch_execz .LBB62_92
; %bb.91:
	s_lshl_b64 s[8:9], s[18:19], 3
	s_add_u32 s5, s24, s8
	v_mov_b32_e32 v21, 0
	s_addc_u32 s7, s25, s9
	v_lshlrev_b64 v[30:31], 3, v[20:21]
	v_mov_b32_e32 v19, s7
	v_add_co_u32_e32 v30, vcc, s5, v30
	v_addc_co_u32_e32 v31, vcc, v19, v31, vcc
	global_store_dwordx2 v[30:31], v[10:11], off
.LBB62_92:
	s_or_b64 exec, exec, s[0:1]
	v_cmp_gt_u32_e32 vcc, s4, v18
	s_or_b64 s[4:5], s[28:29], vcc
	s_and_saveexec_b64 s[0:1], s[4:5]
	s_cbranch_execz .LBB62_95
; %bb.93:
	v_and_b32_e32 v19, 1, v28
	v_cmp_eq_u32_e32 vcc, 1, v19
	s_and_b64 exec, exec, vcc
	s_cbranch_execz .LBB62_95
; %bb.94:
	s_lshl_b64 s[4:5], s[18:19], 3
	s_add_u32 s4, s24, s4
	v_mov_b32_e32 v19, 0
	s_addc_u32 s5, s25, s5
	v_lshlrev_b64 v[30:31], 3, v[18:19]
	v_mov_b32_e32 v19, s5
	v_add_co_u32_e32 v30, vcc, s4, v30
	v_addc_co_u32_e32 v31, vcc, v19, v31, vcc
	global_store_dwordx2 v[30:31], v[12:13], off
.LBB62_95:
	s_or_b64 exec, exec, s[0:1]
	s_mov_b64 s[0:1], 0
.LBB62_96:
	v_and_b32_e32 v27, 1, v1
	s_and_b64 vcc, exec, s[0:1]
	v_cmp_eq_u32_e64 s[0:1], 1, v27
	s_cbranch_vccz .LBB62_109
; %bb.97:
	s_and_saveexec_b64 s[4:5], s[0:1]
	s_cbranch_execz .LBB62_99
; %bb.98:
	v_subrev_u32_e32 v19, s6, v24
	v_lshlrev_b32_e32 v19, 3, v19
	ds_write_b64 v19, v[14:15]
.LBB62_99:
	s_or_b64 exec, exec, s[4:5]
	v_and_b32_e32 v14, 1, v26
	v_cmp_eq_u32_e32 vcc, 1, v14
	s_and_saveexec_b64 s[0:1], vcc
	s_cbranch_execz .LBB62_101
; %bb.100:
	v_subrev_u32_e32 v14, s6, v22
	v_lshlrev_b32_e32 v14, 3, v14
	ds_write_b64 v14, v[16:17]
.LBB62_101:
	s_or_b64 exec, exec, s[0:1]
	v_mov_b32_e32 v14, 1
	v_and_b32_sdwa v14, v14, v1 dst_sel:DWORD dst_unused:UNUSED_PAD src0_sel:DWORD src1_sel:WORD_1
	v_cmp_eq_u32_e32 vcc, 1, v14
	s_and_saveexec_b64 s[0:1], vcc
	s_cbranch_execz .LBB62_103
; %bb.102:
	v_subrev_u32_e32 v14, s6, v20
	v_lshlrev_b32_e32 v14, 3, v14
	ds_write_b64 v14, v[10:11]
.LBB62_103:
	s_or_b64 exec, exec, s[0:1]
	v_and_b32_e32 v10, 1, v28
	v_cmp_eq_u32_e32 vcc, 1, v10
	s_and_saveexec_b64 s[0:1], vcc
	s_cbranch_execz .LBB62_105
; %bb.104:
	v_subrev_u32_e32 v10, s6, v18
	v_lshlrev_b32_e32 v10, 3, v10
	ds_write_b64 v10, v[12:13]
.LBB62_105:
	s_or_b64 exec, exec, s[0:1]
	v_cmp_gt_u32_e32 vcc, s33, v0
	s_waitcnt lgkmcnt(0)
	s_barrier
	s_and_saveexec_b64 s[0:1], vcc
	s_cbranch_execz .LBB62_108
; %bb.106:
	s_mov_b32 s7, 0
	s_lshl_b64 s[4:5], s[6:7], 3
	s_add_u32 s7, s24, s4
	s_addc_u32 s8, s25, s5
	s_lshl_b64 s[4:5], s[18:19], 3
	s_add_u32 s7, s7, s4
	s_addc_u32 s8, s8, s5
	v_lshlrev_b32_e32 v12, 3, v0
	s_mov_b64 s[4:5], 0
	v_mov_b32_e32 v11, 0
	v_mov_b32_e32 v13, s8
	;; [unrolled: 1-line block ×3, first 2 shown]
.LBB62_107:                             ; =>This Inner Loop Header: Depth=1
	ds_read_b64 v[14:15], v12
	v_lshlrev_b64 v[16:17], 3, v[10:11]
	v_add_co_u32_e32 v16, vcc, s7, v16
	v_add_u32_e32 v10, 0x80, v10
	v_addc_co_u32_e32 v17, vcc, v13, v17, vcc
	v_cmp_le_u32_e32 vcc, s33, v10
	v_add_u32_e32 v12, 0x400, v12
	s_or_b64 s[4:5], vcc, s[4:5]
	s_waitcnt lgkmcnt(0)
	global_store_dwordx2 v[16:17], v[14:15], off
	s_andn2_b64 exec, exec, s[4:5]
	s_cbranch_execnz .LBB62_107
.LBB62_108:
	s_or_b64 exec, exec, s[0:1]
.LBB62_109:
	s_mov_b64 s[0:1], -1
	s_and_b64 vcc, exec, s[2:3]
	s_barrier
	s_cbranch_vccnz .LBB62_113
; %bb.110:
	s_and_b64 vcc, exec, s[0:1]
	s_cbranch_vccnz .LBB62_126
.LBB62_111:
	v_cmp_eq_u32_e32 vcc, 0, v0
	s_and_b64 s[0:1], vcc, s[22:23]
	s_and_saveexec_b64 s[2:3], s[0:1]
	s_cbranch_execnz .LBB62_138
.LBB62_112:
	s_endpgm
.LBB62_113:
	s_add_i32 s2, s6, s33
	v_cmp_gt_u32_e32 vcc, s2, v24
	s_or_b64 s[4:5], s[28:29], vcc
	s_and_saveexec_b64 s[0:1], s[4:5]
	s_cbranch_execz .LBB62_116
; %bb.114:
	v_cmp_eq_u32_e32 vcc, 1, v27
	s_and_b64 exec, exec, vcc
	s_cbranch_execz .LBB62_116
; %bb.115:
	s_lshl_b64 s[4:5], s[18:19], 3
	s_add_u32 s3, s26, s4
	v_mov_b32_e32 v25, 0
	s_addc_u32 s4, s27, s5
	v_lshlrev_b64 v[10:11], 3, v[24:25]
	v_mov_b32_e32 v12, s4
	v_add_co_u32_e32 v10, vcc, s3, v10
	v_addc_co_u32_e32 v11, vcc, v12, v11, vcc
	global_store_dwordx2 v[10:11], v[6:7], off
.LBB62_116:
	s_or_b64 exec, exec, s[0:1]
	v_cmp_gt_u32_e32 vcc, s2, v22
	s_or_b64 s[4:5], s[28:29], vcc
	s_and_saveexec_b64 s[0:1], s[4:5]
	s_cbranch_execz .LBB62_119
; %bb.117:
	v_and_b32_e32 v10, 1, v26
	v_cmp_eq_u32_e32 vcc, 1, v10
	s_and_b64 exec, exec, vcc
	s_cbranch_execz .LBB62_119
; %bb.118:
	s_lshl_b64 s[4:5], s[18:19], 3
	s_add_u32 s3, s26, s4
	v_mov_b32_e32 v23, 0
	s_addc_u32 s4, s27, s5
	v_lshlrev_b64 v[10:11], 3, v[22:23]
	v_mov_b32_e32 v12, s4
	v_add_co_u32_e32 v10, vcc, s3, v10
	v_addc_co_u32_e32 v11, vcc, v12, v11, vcc
	global_store_dwordx2 v[10:11], v[8:9], off
.LBB62_119:
	s_or_b64 exec, exec, s[0:1]
	v_cmp_gt_u32_e32 vcc, s2, v20
	s_or_b64 s[4:5], s[28:29], vcc
	s_and_saveexec_b64 s[0:1], s[4:5]
	s_cbranch_execz .LBB62_122
; %bb.120:
	v_mov_b32_e32 v10, 1
	v_and_b32_sdwa v10, v10, v1 dst_sel:DWORD dst_unused:UNUSED_PAD src0_sel:DWORD src1_sel:WORD_1
	v_cmp_eq_u32_e32 vcc, 1, v10
	s_and_b64 exec, exec, vcc
	s_cbranch_execz .LBB62_122
; %bb.121:
	s_lshl_b64 s[4:5], s[18:19], 3
	s_add_u32 s3, s26, s4
	v_mov_b32_e32 v21, 0
	s_addc_u32 s4, s27, s5
	v_lshlrev_b64 v[10:11], 3, v[20:21]
	v_mov_b32_e32 v12, s4
	v_add_co_u32_e32 v10, vcc, s3, v10
	v_addc_co_u32_e32 v11, vcc, v12, v11, vcc
	global_store_dwordx2 v[10:11], v[2:3], off
.LBB62_122:
	s_or_b64 exec, exec, s[0:1]
	v_cmp_gt_u32_e32 vcc, s2, v18
	s_or_b64 s[2:3], s[28:29], vcc
	s_and_saveexec_b64 s[0:1], s[2:3]
	s_cbranch_execz .LBB62_125
; %bb.123:
	v_and_b32_e32 v10, 1, v28
	v_cmp_eq_u32_e32 vcc, 1, v10
	s_and_b64 exec, exec, vcc
	s_cbranch_execz .LBB62_125
; %bb.124:
	s_lshl_b64 s[2:3], s[18:19], 3
	s_add_u32 s2, s26, s2
	v_mov_b32_e32 v19, 0
	s_addc_u32 s3, s27, s3
	v_lshlrev_b64 v[10:11], 3, v[18:19]
	v_mov_b32_e32 v12, s3
	v_add_co_u32_e32 v10, vcc, s2, v10
	v_addc_co_u32_e32 v11, vcc, v12, v11, vcc
	global_store_dwordx2 v[10:11], v[4:5], off
.LBB62_125:
	s_or_b64 exec, exec, s[0:1]
	s_branch .LBB62_111
.LBB62_126:
	v_cmp_eq_u32_e32 vcc, 1, v27
	s_and_saveexec_b64 s[0:1], vcc
	s_cbranch_execz .LBB62_128
; %bb.127:
	v_subrev_u32_e32 v10, s6, v24
	v_lshlrev_b32_e32 v10, 3, v10
	ds_write_b64 v10, v[6:7]
.LBB62_128:
	s_or_b64 exec, exec, s[0:1]
	v_and_b32_e32 v6, 1, v26
	v_cmp_eq_u32_e32 vcc, 1, v6
	s_and_saveexec_b64 s[0:1], vcc
	s_cbranch_execz .LBB62_130
; %bb.129:
	v_subrev_u32_e32 v6, s6, v22
	v_lshlrev_b32_e32 v6, 3, v6
	ds_write_b64 v6, v[8:9]
.LBB62_130:
	s_or_b64 exec, exec, s[0:1]
	v_mov_b32_e32 v6, 1
	v_and_b32_sdwa v1, v6, v1 dst_sel:DWORD dst_unused:UNUSED_PAD src0_sel:DWORD src1_sel:WORD_1
	v_cmp_eq_u32_e32 vcc, 1, v1
	s_and_saveexec_b64 s[0:1], vcc
	s_cbranch_execz .LBB62_132
; %bb.131:
	v_subrev_u32_e32 v1, s6, v20
	v_lshlrev_b32_e32 v1, 3, v1
	ds_write_b64 v1, v[2:3]
.LBB62_132:
	s_or_b64 exec, exec, s[0:1]
	v_and_b32_e32 v1, 1, v28
	v_cmp_eq_u32_e32 vcc, 1, v1
	s_and_saveexec_b64 s[0:1], vcc
	s_cbranch_execz .LBB62_134
; %bb.133:
	v_subrev_u32_e32 v1, s6, v18
	v_lshlrev_b32_e32 v1, 3, v1
	ds_write_b64 v1, v[4:5]
.LBB62_134:
	s_or_b64 exec, exec, s[0:1]
	v_cmp_gt_u32_e32 vcc, s33, v0
	s_waitcnt lgkmcnt(0)
	s_barrier
	s_and_saveexec_b64 s[0:1], vcc
	s_cbranch_execz .LBB62_137
; %bb.135:
	s_mov_b32 s7, 0
	s_lshl_b64 s[2:3], s[6:7], 3
	s_add_u32 s4, s26, s2
	s_addc_u32 s5, s27, s3
	s_lshl_b64 s[2:3], s[18:19], 3
	s_add_u32 s4, s4, s2
	s_addc_u32 s5, s5, s3
	v_lshlrev_b32_e32 v1, 3, v0
	s_mov_b64 s[2:3], 0
	v_mov_b32_e32 v3, 0
	v_mov_b32_e32 v4, s5
	;; [unrolled: 1-line block ×3, first 2 shown]
.LBB62_136:                             ; =>This Inner Loop Header: Depth=1
	ds_read_b64 v[6:7], v1
	v_lshlrev_b64 v[8:9], 3, v[2:3]
	v_add_co_u32_e32 v8, vcc, s4, v8
	v_add_u32_e32 v2, 0x80, v2
	v_addc_co_u32_e32 v9, vcc, v4, v9, vcc
	v_cmp_le_u32_e32 vcc, s33, v2
	v_add_u32_e32 v1, 0x400, v1
	s_or_b64 s[2:3], vcc, s[2:3]
	s_waitcnt lgkmcnt(0)
	global_store_dwordx2 v[8:9], v[6:7], off
	s_andn2_b64 exec, exec, s[2:3]
	s_cbranch_execnz .LBB62_136
.LBB62_137:
	s_or_b64 exec, exec, s[0:1]
	v_cmp_eq_u32_e32 vcc, 0, v0
	s_and_b64 s[0:1], vcc, s[22:23]
	s_and_saveexec_b64 s[2:3], s[0:1]
	s_cbranch_execz .LBB62_112
.LBB62_138:
	s_add_u32 s0, s18, s33
	s_addc_u32 s1, s19, 0
	s_add_u32 s0, s0, s6
	s_addc_u32 s1, s1, 0
	v_mov_b32_e32 v2, 0
	v_pk_mov_b32 v[0:1], s[0:1], s[0:1] op_sel:[0,1]
	global_store_dwordx2 v2, v[0:1], s[20:21]
	s_endpgm
	.section	.rodata,"a",@progbits
	.p2align	6, 0x0
	.amdhsa_kernel _ZN7rocprim17ROCPRIM_400000_NS6detail17trampoline_kernelINS0_14default_configENS1_25partition_config_selectorILNS1_17partition_subalgoE9EllbEEZZNS1_14partition_implILS5_9ELb0ES3_jPKlN6thrust23THRUST_200600_302600_NS17counting_iteratorIlNSB_11use_defaultESD_SD_EEPNS0_10empty_typeENS0_5tupleIJPlSF_EEENSH_IJSI_SG_EEENS0_18inequality_wrapperIN6hipcub16HIPCUB_304000_NS8EqualityEEESI_JSF_EEE10hipError_tPvRmT3_T4_T5_T6_T7_T9_mT8_P12ihipStream_tbDpT10_ENKUlT_T0_E_clISt17integral_constantIbLb1EES18_IbLb0EEEEDaS14_S15_EUlS14_E_NS1_11comp_targetILNS1_3genE4ELNS1_11target_archE910ELNS1_3gpuE8ELNS1_3repE0EEENS1_30default_config_static_selectorELNS0_4arch9wavefront6targetE1EEEvT1_
		.amdhsa_group_segment_fixed_size 4232
		.amdhsa_private_segment_fixed_size 0
		.amdhsa_kernarg_size 112
		.amdhsa_user_sgpr_count 6
		.amdhsa_user_sgpr_private_segment_buffer 1
		.amdhsa_user_sgpr_dispatch_ptr 0
		.amdhsa_user_sgpr_queue_ptr 0
		.amdhsa_user_sgpr_kernarg_segment_ptr 1
		.amdhsa_user_sgpr_dispatch_id 0
		.amdhsa_user_sgpr_flat_scratch_init 0
		.amdhsa_user_sgpr_kernarg_preload_length 0
		.amdhsa_user_sgpr_kernarg_preload_offset 0
		.amdhsa_user_sgpr_private_segment_size 0
		.amdhsa_uses_dynamic_stack 0
		.amdhsa_system_sgpr_private_segment_wavefront_offset 0
		.amdhsa_system_sgpr_workgroup_id_x 1
		.amdhsa_system_sgpr_workgroup_id_y 0
		.amdhsa_system_sgpr_workgroup_id_z 0
		.amdhsa_system_sgpr_workgroup_info 0
		.amdhsa_system_vgpr_workitem_id 0
		.amdhsa_next_free_vgpr 50
		.amdhsa_next_free_sgpr 42
		.amdhsa_accum_offset 52
		.amdhsa_reserve_vcc 1
		.amdhsa_reserve_flat_scratch 0
		.amdhsa_float_round_mode_32 0
		.amdhsa_float_round_mode_16_64 0
		.amdhsa_float_denorm_mode_32 3
		.amdhsa_float_denorm_mode_16_64 3
		.amdhsa_dx10_clamp 1
		.amdhsa_ieee_mode 1
		.amdhsa_fp16_overflow 0
		.amdhsa_tg_split 0
		.amdhsa_exception_fp_ieee_invalid_op 0
		.amdhsa_exception_fp_denorm_src 0
		.amdhsa_exception_fp_ieee_div_zero 0
		.amdhsa_exception_fp_ieee_overflow 0
		.amdhsa_exception_fp_ieee_underflow 0
		.amdhsa_exception_fp_ieee_inexact 0
		.amdhsa_exception_int_div_zero 0
	.end_amdhsa_kernel
	.section	.text._ZN7rocprim17ROCPRIM_400000_NS6detail17trampoline_kernelINS0_14default_configENS1_25partition_config_selectorILNS1_17partition_subalgoE9EllbEEZZNS1_14partition_implILS5_9ELb0ES3_jPKlN6thrust23THRUST_200600_302600_NS17counting_iteratorIlNSB_11use_defaultESD_SD_EEPNS0_10empty_typeENS0_5tupleIJPlSF_EEENSH_IJSI_SG_EEENS0_18inequality_wrapperIN6hipcub16HIPCUB_304000_NS8EqualityEEESI_JSF_EEE10hipError_tPvRmT3_T4_T5_T6_T7_T9_mT8_P12ihipStream_tbDpT10_ENKUlT_T0_E_clISt17integral_constantIbLb1EES18_IbLb0EEEEDaS14_S15_EUlS14_E_NS1_11comp_targetILNS1_3genE4ELNS1_11target_archE910ELNS1_3gpuE8ELNS1_3repE0EEENS1_30default_config_static_selectorELNS0_4arch9wavefront6targetE1EEEvT1_,"axG",@progbits,_ZN7rocprim17ROCPRIM_400000_NS6detail17trampoline_kernelINS0_14default_configENS1_25partition_config_selectorILNS1_17partition_subalgoE9EllbEEZZNS1_14partition_implILS5_9ELb0ES3_jPKlN6thrust23THRUST_200600_302600_NS17counting_iteratorIlNSB_11use_defaultESD_SD_EEPNS0_10empty_typeENS0_5tupleIJPlSF_EEENSH_IJSI_SG_EEENS0_18inequality_wrapperIN6hipcub16HIPCUB_304000_NS8EqualityEEESI_JSF_EEE10hipError_tPvRmT3_T4_T5_T6_T7_T9_mT8_P12ihipStream_tbDpT10_ENKUlT_T0_E_clISt17integral_constantIbLb1EES18_IbLb0EEEEDaS14_S15_EUlS14_E_NS1_11comp_targetILNS1_3genE4ELNS1_11target_archE910ELNS1_3gpuE8ELNS1_3repE0EEENS1_30default_config_static_selectorELNS0_4arch9wavefront6targetE1EEEvT1_,comdat
.Lfunc_end62:
	.size	_ZN7rocprim17ROCPRIM_400000_NS6detail17trampoline_kernelINS0_14default_configENS1_25partition_config_selectorILNS1_17partition_subalgoE9EllbEEZZNS1_14partition_implILS5_9ELb0ES3_jPKlN6thrust23THRUST_200600_302600_NS17counting_iteratorIlNSB_11use_defaultESD_SD_EEPNS0_10empty_typeENS0_5tupleIJPlSF_EEENSH_IJSI_SG_EEENS0_18inequality_wrapperIN6hipcub16HIPCUB_304000_NS8EqualityEEESI_JSF_EEE10hipError_tPvRmT3_T4_T5_T6_T7_T9_mT8_P12ihipStream_tbDpT10_ENKUlT_T0_E_clISt17integral_constantIbLb1EES18_IbLb0EEEEDaS14_S15_EUlS14_E_NS1_11comp_targetILNS1_3genE4ELNS1_11target_archE910ELNS1_3gpuE8ELNS1_3repE0EEENS1_30default_config_static_selectorELNS0_4arch9wavefront6targetE1EEEvT1_, .Lfunc_end62-_ZN7rocprim17ROCPRIM_400000_NS6detail17trampoline_kernelINS0_14default_configENS1_25partition_config_selectorILNS1_17partition_subalgoE9EllbEEZZNS1_14partition_implILS5_9ELb0ES3_jPKlN6thrust23THRUST_200600_302600_NS17counting_iteratorIlNSB_11use_defaultESD_SD_EEPNS0_10empty_typeENS0_5tupleIJPlSF_EEENSH_IJSI_SG_EEENS0_18inequality_wrapperIN6hipcub16HIPCUB_304000_NS8EqualityEEESI_JSF_EEE10hipError_tPvRmT3_T4_T5_T6_T7_T9_mT8_P12ihipStream_tbDpT10_ENKUlT_T0_E_clISt17integral_constantIbLb1EES18_IbLb0EEEEDaS14_S15_EUlS14_E_NS1_11comp_targetILNS1_3genE4ELNS1_11target_archE910ELNS1_3gpuE8ELNS1_3repE0EEENS1_30default_config_static_selectorELNS0_4arch9wavefront6targetE1EEEvT1_
                                        ; -- End function
	.section	.AMDGPU.csdata,"",@progbits
; Kernel info:
; codeLenInByte = 5304
; NumSgprs: 46
; NumVgprs: 50
; NumAgprs: 0
; TotalNumVgprs: 50
; ScratchSize: 0
; MemoryBound: 0
; FloatMode: 240
; IeeeMode: 1
; LDSByteSize: 4232 bytes/workgroup (compile time only)
; SGPRBlocks: 5
; VGPRBlocks: 6
; NumSGPRsForWavesPerEU: 46
; NumVGPRsForWavesPerEU: 50
; AccumOffset: 52
; Occupancy: 8
; WaveLimiterHint : 1
; COMPUTE_PGM_RSRC2:SCRATCH_EN: 0
; COMPUTE_PGM_RSRC2:USER_SGPR: 6
; COMPUTE_PGM_RSRC2:TRAP_HANDLER: 0
; COMPUTE_PGM_RSRC2:TGID_X_EN: 1
; COMPUTE_PGM_RSRC2:TGID_Y_EN: 0
; COMPUTE_PGM_RSRC2:TGID_Z_EN: 0
; COMPUTE_PGM_RSRC2:TIDIG_COMP_CNT: 0
; COMPUTE_PGM_RSRC3_GFX90A:ACCUM_OFFSET: 12
; COMPUTE_PGM_RSRC3_GFX90A:TG_SPLIT: 0
	.section	.text._ZN7rocprim17ROCPRIM_400000_NS6detail17trampoline_kernelINS0_14default_configENS1_25partition_config_selectorILNS1_17partition_subalgoE9EllbEEZZNS1_14partition_implILS5_9ELb0ES3_jPKlN6thrust23THRUST_200600_302600_NS17counting_iteratorIlNSB_11use_defaultESD_SD_EEPNS0_10empty_typeENS0_5tupleIJPlSF_EEENSH_IJSI_SG_EEENS0_18inequality_wrapperIN6hipcub16HIPCUB_304000_NS8EqualityEEESI_JSF_EEE10hipError_tPvRmT3_T4_T5_T6_T7_T9_mT8_P12ihipStream_tbDpT10_ENKUlT_T0_E_clISt17integral_constantIbLb1EES18_IbLb0EEEEDaS14_S15_EUlS14_E_NS1_11comp_targetILNS1_3genE3ELNS1_11target_archE908ELNS1_3gpuE7ELNS1_3repE0EEENS1_30default_config_static_selectorELNS0_4arch9wavefront6targetE1EEEvT1_,"axG",@progbits,_ZN7rocprim17ROCPRIM_400000_NS6detail17trampoline_kernelINS0_14default_configENS1_25partition_config_selectorILNS1_17partition_subalgoE9EllbEEZZNS1_14partition_implILS5_9ELb0ES3_jPKlN6thrust23THRUST_200600_302600_NS17counting_iteratorIlNSB_11use_defaultESD_SD_EEPNS0_10empty_typeENS0_5tupleIJPlSF_EEENSH_IJSI_SG_EEENS0_18inequality_wrapperIN6hipcub16HIPCUB_304000_NS8EqualityEEESI_JSF_EEE10hipError_tPvRmT3_T4_T5_T6_T7_T9_mT8_P12ihipStream_tbDpT10_ENKUlT_T0_E_clISt17integral_constantIbLb1EES18_IbLb0EEEEDaS14_S15_EUlS14_E_NS1_11comp_targetILNS1_3genE3ELNS1_11target_archE908ELNS1_3gpuE7ELNS1_3repE0EEENS1_30default_config_static_selectorELNS0_4arch9wavefront6targetE1EEEvT1_,comdat
	.protected	_ZN7rocprim17ROCPRIM_400000_NS6detail17trampoline_kernelINS0_14default_configENS1_25partition_config_selectorILNS1_17partition_subalgoE9EllbEEZZNS1_14partition_implILS5_9ELb0ES3_jPKlN6thrust23THRUST_200600_302600_NS17counting_iteratorIlNSB_11use_defaultESD_SD_EEPNS0_10empty_typeENS0_5tupleIJPlSF_EEENSH_IJSI_SG_EEENS0_18inequality_wrapperIN6hipcub16HIPCUB_304000_NS8EqualityEEESI_JSF_EEE10hipError_tPvRmT3_T4_T5_T6_T7_T9_mT8_P12ihipStream_tbDpT10_ENKUlT_T0_E_clISt17integral_constantIbLb1EES18_IbLb0EEEEDaS14_S15_EUlS14_E_NS1_11comp_targetILNS1_3genE3ELNS1_11target_archE908ELNS1_3gpuE7ELNS1_3repE0EEENS1_30default_config_static_selectorELNS0_4arch9wavefront6targetE1EEEvT1_ ; -- Begin function _ZN7rocprim17ROCPRIM_400000_NS6detail17trampoline_kernelINS0_14default_configENS1_25partition_config_selectorILNS1_17partition_subalgoE9EllbEEZZNS1_14partition_implILS5_9ELb0ES3_jPKlN6thrust23THRUST_200600_302600_NS17counting_iteratorIlNSB_11use_defaultESD_SD_EEPNS0_10empty_typeENS0_5tupleIJPlSF_EEENSH_IJSI_SG_EEENS0_18inequality_wrapperIN6hipcub16HIPCUB_304000_NS8EqualityEEESI_JSF_EEE10hipError_tPvRmT3_T4_T5_T6_T7_T9_mT8_P12ihipStream_tbDpT10_ENKUlT_T0_E_clISt17integral_constantIbLb1EES18_IbLb0EEEEDaS14_S15_EUlS14_E_NS1_11comp_targetILNS1_3genE3ELNS1_11target_archE908ELNS1_3gpuE7ELNS1_3repE0EEENS1_30default_config_static_selectorELNS0_4arch9wavefront6targetE1EEEvT1_
	.globl	_ZN7rocprim17ROCPRIM_400000_NS6detail17trampoline_kernelINS0_14default_configENS1_25partition_config_selectorILNS1_17partition_subalgoE9EllbEEZZNS1_14partition_implILS5_9ELb0ES3_jPKlN6thrust23THRUST_200600_302600_NS17counting_iteratorIlNSB_11use_defaultESD_SD_EEPNS0_10empty_typeENS0_5tupleIJPlSF_EEENSH_IJSI_SG_EEENS0_18inequality_wrapperIN6hipcub16HIPCUB_304000_NS8EqualityEEESI_JSF_EEE10hipError_tPvRmT3_T4_T5_T6_T7_T9_mT8_P12ihipStream_tbDpT10_ENKUlT_T0_E_clISt17integral_constantIbLb1EES18_IbLb0EEEEDaS14_S15_EUlS14_E_NS1_11comp_targetILNS1_3genE3ELNS1_11target_archE908ELNS1_3gpuE7ELNS1_3repE0EEENS1_30default_config_static_selectorELNS0_4arch9wavefront6targetE1EEEvT1_
	.p2align	8
	.type	_ZN7rocprim17ROCPRIM_400000_NS6detail17trampoline_kernelINS0_14default_configENS1_25partition_config_selectorILNS1_17partition_subalgoE9EllbEEZZNS1_14partition_implILS5_9ELb0ES3_jPKlN6thrust23THRUST_200600_302600_NS17counting_iteratorIlNSB_11use_defaultESD_SD_EEPNS0_10empty_typeENS0_5tupleIJPlSF_EEENSH_IJSI_SG_EEENS0_18inequality_wrapperIN6hipcub16HIPCUB_304000_NS8EqualityEEESI_JSF_EEE10hipError_tPvRmT3_T4_T5_T6_T7_T9_mT8_P12ihipStream_tbDpT10_ENKUlT_T0_E_clISt17integral_constantIbLb1EES18_IbLb0EEEEDaS14_S15_EUlS14_E_NS1_11comp_targetILNS1_3genE3ELNS1_11target_archE908ELNS1_3gpuE7ELNS1_3repE0EEENS1_30default_config_static_selectorELNS0_4arch9wavefront6targetE1EEEvT1_,@function
_ZN7rocprim17ROCPRIM_400000_NS6detail17trampoline_kernelINS0_14default_configENS1_25partition_config_selectorILNS1_17partition_subalgoE9EllbEEZZNS1_14partition_implILS5_9ELb0ES3_jPKlN6thrust23THRUST_200600_302600_NS17counting_iteratorIlNSB_11use_defaultESD_SD_EEPNS0_10empty_typeENS0_5tupleIJPlSF_EEENSH_IJSI_SG_EEENS0_18inequality_wrapperIN6hipcub16HIPCUB_304000_NS8EqualityEEESI_JSF_EEE10hipError_tPvRmT3_T4_T5_T6_T7_T9_mT8_P12ihipStream_tbDpT10_ENKUlT_T0_E_clISt17integral_constantIbLb1EES18_IbLb0EEEEDaS14_S15_EUlS14_E_NS1_11comp_targetILNS1_3genE3ELNS1_11target_archE908ELNS1_3gpuE7ELNS1_3repE0EEENS1_30default_config_static_selectorELNS0_4arch9wavefront6targetE1EEEvT1_: ; @_ZN7rocprim17ROCPRIM_400000_NS6detail17trampoline_kernelINS0_14default_configENS1_25partition_config_selectorILNS1_17partition_subalgoE9EllbEEZZNS1_14partition_implILS5_9ELb0ES3_jPKlN6thrust23THRUST_200600_302600_NS17counting_iteratorIlNSB_11use_defaultESD_SD_EEPNS0_10empty_typeENS0_5tupleIJPlSF_EEENSH_IJSI_SG_EEENS0_18inequality_wrapperIN6hipcub16HIPCUB_304000_NS8EqualityEEESI_JSF_EEE10hipError_tPvRmT3_T4_T5_T6_T7_T9_mT8_P12ihipStream_tbDpT10_ENKUlT_T0_E_clISt17integral_constantIbLb1EES18_IbLb0EEEEDaS14_S15_EUlS14_E_NS1_11comp_targetILNS1_3genE3ELNS1_11target_archE908ELNS1_3gpuE7ELNS1_3repE0EEENS1_30default_config_static_selectorELNS0_4arch9wavefront6targetE1EEEvT1_
; %bb.0:
	.section	.rodata,"a",@progbits
	.p2align	6, 0x0
	.amdhsa_kernel _ZN7rocprim17ROCPRIM_400000_NS6detail17trampoline_kernelINS0_14default_configENS1_25partition_config_selectorILNS1_17partition_subalgoE9EllbEEZZNS1_14partition_implILS5_9ELb0ES3_jPKlN6thrust23THRUST_200600_302600_NS17counting_iteratorIlNSB_11use_defaultESD_SD_EEPNS0_10empty_typeENS0_5tupleIJPlSF_EEENSH_IJSI_SG_EEENS0_18inequality_wrapperIN6hipcub16HIPCUB_304000_NS8EqualityEEESI_JSF_EEE10hipError_tPvRmT3_T4_T5_T6_T7_T9_mT8_P12ihipStream_tbDpT10_ENKUlT_T0_E_clISt17integral_constantIbLb1EES18_IbLb0EEEEDaS14_S15_EUlS14_E_NS1_11comp_targetILNS1_3genE3ELNS1_11target_archE908ELNS1_3gpuE7ELNS1_3repE0EEENS1_30default_config_static_selectorELNS0_4arch9wavefront6targetE1EEEvT1_
		.amdhsa_group_segment_fixed_size 0
		.amdhsa_private_segment_fixed_size 0
		.amdhsa_kernarg_size 112
		.amdhsa_user_sgpr_count 6
		.amdhsa_user_sgpr_private_segment_buffer 1
		.amdhsa_user_sgpr_dispatch_ptr 0
		.amdhsa_user_sgpr_queue_ptr 0
		.amdhsa_user_sgpr_kernarg_segment_ptr 1
		.amdhsa_user_sgpr_dispatch_id 0
		.amdhsa_user_sgpr_flat_scratch_init 0
		.amdhsa_user_sgpr_kernarg_preload_length 0
		.amdhsa_user_sgpr_kernarg_preload_offset 0
		.amdhsa_user_sgpr_private_segment_size 0
		.amdhsa_uses_dynamic_stack 0
		.amdhsa_system_sgpr_private_segment_wavefront_offset 0
		.amdhsa_system_sgpr_workgroup_id_x 1
		.amdhsa_system_sgpr_workgroup_id_y 0
		.amdhsa_system_sgpr_workgroup_id_z 0
		.amdhsa_system_sgpr_workgroup_info 0
		.amdhsa_system_vgpr_workitem_id 0
		.amdhsa_next_free_vgpr 1
		.amdhsa_next_free_sgpr 0
		.amdhsa_accum_offset 4
		.amdhsa_reserve_vcc 0
		.amdhsa_reserve_flat_scratch 0
		.amdhsa_float_round_mode_32 0
		.amdhsa_float_round_mode_16_64 0
		.amdhsa_float_denorm_mode_32 3
		.amdhsa_float_denorm_mode_16_64 3
		.amdhsa_dx10_clamp 1
		.amdhsa_ieee_mode 1
		.amdhsa_fp16_overflow 0
		.amdhsa_tg_split 0
		.amdhsa_exception_fp_ieee_invalid_op 0
		.amdhsa_exception_fp_denorm_src 0
		.amdhsa_exception_fp_ieee_div_zero 0
		.amdhsa_exception_fp_ieee_overflow 0
		.amdhsa_exception_fp_ieee_underflow 0
		.amdhsa_exception_fp_ieee_inexact 0
		.amdhsa_exception_int_div_zero 0
	.end_amdhsa_kernel
	.section	.text._ZN7rocprim17ROCPRIM_400000_NS6detail17trampoline_kernelINS0_14default_configENS1_25partition_config_selectorILNS1_17partition_subalgoE9EllbEEZZNS1_14partition_implILS5_9ELb0ES3_jPKlN6thrust23THRUST_200600_302600_NS17counting_iteratorIlNSB_11use_defaultESD_SD_EEPNS0_10empty_typeENS0_5tupleIJPlSF_EEENSH_IJSI_SG_EEENS0_18inequality_wrapperIN6hipcub16HIPCUB_304000_NS8EqualityEEESI_JSF_EEE10hipError_tPvRmT3_T4_T5_T6_T7_T9_mT8_P12ihipStream_tbDpT10_ENKUlT_T0_E_clISt17integral_constantIbLb1EES18_IbLb0EEEEDaS14_S15_EUlS14_E_NS1_11comp_targetILNS1_3genE3ELNS1_11target_archE908ELNS1_3gpuE7ELNS1_3repE0EEENS1_30default_config_static_selectorELNS0_4arch9wavefront6targetE1EEEvT1_,"axG",@progbits,_ZN7rocprim17ROCPRIM_400000_NS6detail17trampoline_kernelINS0_14default_configENS1_25partition_config_selectorILNS1_17partition_subalgoE9EllbEEZZNS1_14partition_implILS5_9ELb0ES3_jPKlN6thrust23THRUST_200600_302600_NS17counting_iteratorIlNSB_11use_defaultESD_SD_EEPNS0_10empty_typeENS0_5tupleIJPlSF_EEENSH_IJSI_SG_EEENS0_18inequality_wrapperIN6hipcub16HIPCUB_304000_NS8EqualityEEESI_JSF_EEE10hipError_tPvRmT3_T4_T5_T6_T7_T9_mT8_P12ihipStream_tbDpT10_ENKUlT_T0_E_clISt17integral_constantIbLb1EES18_IbLb0EEEEDaS14_S15_EUlS14_E_NS1_11comp_targetILNS1_3genE3ELNS1_11target_archE908ELNS1_3gpuE7ELNS1_3repE0EEENS1_30default_config_static_selectorELNS0_4arch9wavefront6targetE1EEEvT1_,comdat
.Lfunc_end63:
	.size	_ZN7rocprim17ROCPRIM_400000_NS6detail17trampoline_kernelINS0_14default_configENS1_25partition_config_selectorILNS1_17partition_subalgoE9EllbEEZZNS1_14partition_implILS5_9ELb0ES3_jPKlN6thrust23THRUST_200600_302600_NS17counting_iteratorIlNSB_11use_defaultESD_SD_EEPNS0_10empty_typeENS0_5tupleIJPlSF_EEENSH_IJSI_SG_EEENS0_18inequality_wrapperIN6hipcub16HIPCUB_304000_NS8EqualityEEESI_JSF_EEE10hipError_tPvRmT3_T4_T5_T6_T7_T9_mT8_P12ihipStream_tbDpT10_ENKUlT_T0_E_clISt17integral_constantIbLb1EES18_IbLb0EEEEDaS14_S15_EUlS14_E_NS1_11comp_targetILNS1_3genE3ELNS1_11target_archE908ELNS1_3gpuE7ELNS1_3repE0EEENS1_30default_config_static_selectorELNS0_4arch9wavefront6targetE1EEEvT1_, .Lfunc_end63-_ZN7rocprim17ROCPRIM_400000_NS6detail17trampoline_kernelINS0_14default_configENS1_25partition_config_selectorILNS1_17partition_subalgoE9EllbEEZZNS1_14partition_implILS5_9ELb0ES3_jPKlN6thrust23THRUST_200600_302600_NS17counting_iteratorIlNSB_11use_defaultESD_SD_EEPNS0_10empty_typeENS0_5tupleIJPlSF_EEENSH_IJSI_SG_EEENS0_18inequality_wrapperIN6hipcub16HIPCUB_304000_NS8EqualityEEESI_JSF_EEE10hipError_tPvRmT3_T4_T5_T6_T7_T9_mT8_P12ihipStream_tbDpT10_ENKUlT_T0_E_clISt17integral_constantIbLb1EES18_IbLb0EEEEDaS14_S15_EUlS14_E_NS1_11comp_targetILNS1_3genE3ELNS1_11target_archE908ELNS1_3gpuE7ELNS1_3repE0EEENS1_30default_config_static_selectorELNS0_4arch9wavefront6targetE1EEEvT1_
                                        ; -- End function
	.section	.AMDGPU.csdata,"",@progbits
; Kernel info:
; codeLenInByte = 0
; NumSgprs: 4
; NumVgprs: 0
; NumAgprs: 0
; TotalNumVgprs: 0
; ScratchSize: 0
; MemoryBound: 0
; FloatMode: 240
; IeeeMode: 1
; LDSByteSize: 0 bytes/workgroup (compile time only)
; SGPRBlocks: 0
; VGPRBlocks: 0
; NumSGPRsForWavesPerEU: 4
; NumVGPRsForWavesPerEU: 1
; AccumOffset: 4
; Occupancy: 8
; WaveLimiterHint : 0
; COMPUTE_PGM_RSRC2:SCRATCH_EN: 0
; COMPUTE_PGM_RSRC2:USER_SGPR: 6
; COMPUTE_PGM_RSRC2:TRAP_HANDLER: 0
; COMPUTE_PGM_RSRC2:TGID_X_EN: 1
; COMPUTE_PGM_RSRC2:TGID_Y_EN: 0
; COMPUTE_PGM_RSRC2:TGID_Z_EN: 0
; COMPUTE_PGM_RSRC2:TIDIG_COMP_CNT: 0
; COMPUTE_PGM_RSRC3_GFX90A:ACCUM_OFFSET: 0
; COMPUTE_PGM_RSRC3_GFX90A:TG_SPLIT: 0
	.section	.text._ZN7rocprim17ROCPRIM_400000_NS6detail17trampoline_kernelINS0_14default_configENS1_25partition_config_selectorILNS1_17partition_subalgoE9EllbEEZZNS1_14partition_implILS5_9ELb0ES3_jPKlN6thrust23THRUST_200600_302600_NS17counting_iteratorIlNSB_11use_defaultESD_SD_EEPNS0_10empty_typeENS0_5tupleIJPlSF_EEENSH_IJSI_SG_EEENS0_18inequality_wrapperIN6hipcub16HIPCUB_304000_NS8EqualityEEESI_JSF_EEE10hipError_tPvRmT3_T4_T5_T6_T7_T9_mT8_P12ihipStream_tbDpT10_ENKUlT_T0_E_clISt17integral_constantIbLb1EES18_IbLb0EEEEDaS14_S15_EUlS14_E_NS1_11comp_targetILNS1_3genE2ELNS1_11target_archE906ELNS1_3gpuE6ELNS1_3repE0EEENS1_30default_config_static_selectorELNS0_4arch9wavefront6targetE1EEEvT1_,"axG",@progbits,_ZN7rocprim17ROCPRIM_400000_NS6detail17trampoline_kernelINS0_14default_configENS1_25partition_config_selectorILNS1_17partition_subalgoE9EllbEEZZNS1_14partition_implILS5_9ELb0ES3_jPKlN6thrust23THRUST_200600_302600_NS17counting_iteratorIlNSB_11use_defaultESD_SD_EEPNS0_10empty_typeENS0_5tupleIJPlSF_EEENSH_IJSI_SG_EEENS0_18inequality_wrapperIN6hipcub16HIPCUB_304000_NS8EqualityEEESI_JSF_EEE10hipError_tPvRmT3_T4_T5_T6_T7_T9_mT8_P12ihipStream_tbDpT10_ENKUlT_T0_E_clISt17integral_constantIbLb1EES18_IbLb0EEEEDaS14_S15_EUlS14_E_NS1_11comp_targetILNS1_3genE2ELNS1_11target_archE906ELNS1_3gpuE6ELNS1_3repE0EEENS1_30default_config_static_selectorELNS0_4arch9wavefront6targetE1EEEvT1_,comdat
	.protected	_ZN7rocprim17ROCPRIM_400000_NS6detail17trampoline_kernelINS0_14default_configENS1_25partition_config_selectorILNS1_17partition_subalgoE9EllbEEZZNS1_14partition_implILS5_9ELb0ES3_jPKlN6thrust23THRUST_200600_302600_NS17counting_iteratorIlNSB_11use_defaultESD_SD_EEPNS0_10empty_typeENS0_5tupleIJPlSF_EEENSH_IJSI_SG_EEENS0_18inequality_wrapperIN6hipcub16HIPCUB_304000_NS8EqualityEEESI_JSF_EEE10hipError_tPvRmT3_T4_T5_T6_T7_T9_mT8_P12ihipStream_tbDpT10_ENKUlT_T0_E_clISt17integral_constantIbLb1EES18_IbLb0EEEEDaS14_S15_EUlS14_E_NS1_11comp_targetILNS1_3genE2ELNS1_11target_archE906ELNS1_3gpuE6ELNS1_3repE0EEENS1_30default_config_static_selectorELNS0_4arch9wavefront6targetE1EEEvT1_ ; -- Begin function _ZN7rocprim17ROCPRIM_400000_NS6detail17trampoline_kernelINS0_14default_configENS1_25partition_config_selectorILNS1_17partition_subalgoE9EllbEEZZNS1_14partition_implILS5_9ELb0ES3_jPKlN6thrust23THRUST_200600_302600_NS17counting_iteratorIlNSB_11use_defaultESD_SD_EEPNS0_10empty_typeENS0_5tupleIJPlSF_EEENSH_IJSI_SG_EEENS0_18inequality_wrapperIN6hipcub16HIPCUB_304000_NS8EqualityEEESI_JSF_EEE10hipError_tPvRmT3_T4_T5_T6_T7_T9_mT8_P12ihipStream_tbDpT10_ENKUlT_T0_E_clISt17integral_constantIbLb1EES18_IbLb0EEEEDaS14_S15_EUlS14_E_NS1_11comp_targetILNS1_3genE2ELNS1_11target_archE906ELNS1_3gpuE6ELNS1_3repE0EEENS1_30default_config_static_selectorELNS0_4arch9wavefront6targetE1EEEvT1_
	.globl	_ZN7rocprim17ROCPRIM_400000_NS6detail17trampoline_kernelINS0_14default_configENS1_25partition_config_selectorILNS1_17partition_subalgoE9EllbEEZZNS1_14partition_implILS5_9ELb0ES3_jPKlN6thrust23THRUST_200600_302600_NS17counting_iteratorIlNSB_11use_defaultESD_SD_EEPNS0_10empty_typeENS0_5tupleIJPlSF_EEENSH_IJSI_SG_EEENS0_18inequality_wrapperIN6hipcub16HIPCUB_304000_NS8EqualityEEESI_JSF_EEE10hipError_tPvRmT3_T4_T5_T6_T7_T9_mT8_P12ihipStream_tbDpT10_ENKUlT_T0_E_clISt17integral_constantIbLb1EES18_IbLb0EEEEDaS14_S15_EUlS14_E_NS1_11comp_targetILNS1_3genE2ELNS1_11target_archE906ELNS1_3gpuE6ELNS1_3repE0EEENS1_30default_config_static_selectorELNS0_4arch9wavefront6targetE1EEEvT1_
	.p2align	8
	.type	_ZN7rocprim17ROCPRIM_400000_NS6detail17trampoline_kernelINS0_14default_configENS1_25partition_config_selectorILNS1_17partition_subalgoE9EllbEEZZNS1_14partition_implILS5_9ELb0ES3_jPKlN6thrust23THRUST_200600_302600_NS17counting_iteratorIlNSB_11use_defaultESD_SD_EEPNS0_10empty_typeENS0_5tupleIJPlSF_EEENSH_IJSI_SG_EEENS0_18inequality_wrapperIN6hipcub16HIPCUB_304000_NS8EqualityEEESI_JSF_EEE10hipError_tPvRmT3_T4_T5_T6_T7_T9_mT8_P12ihipStream_tbDpT10_ENKUlT_T0_E_clISt17integral_constantIbLb1EES18_IbLb0EEEEDaS14_S15_EUlS14_E_NS1_11comp_targetILNS1_3genE2ELNS1_11target_archE906ELNS1_3gpuE6ELNS1_3repE0EEENS1_30default_config_static_selectorELNS0_4arch9wavefront6targetE1EEEvT1_,@function
_ZN7rocprim17ROCPRIM_400000_NS6detail17trampoline_kernelINS0_14default_configENS1_25partition_config_selectorILNS1_17partition_subalgoE9EllbEEZZNS1_14partition_implILS5_9ELb0ES3_jPKlN6thrust23THRUST_200600_302600_NS17counting_iteratorIlNSB_11use_defaultESD_SD_EEPNS0_10empty_typeENS0_5tupleIJPlSF_EEENSH_IJSI_SG_EEENS0_18inequality_wrapperIN6hipcub16HIPCUB_304000_NS8EqualityEEESI_JSF_EEE10hipError_tPvRmT3_T4_T5_T6_T7_T9_mT8_P12ihipStream_tbDpT10_ENKUlT_T0_E_clISt17integral_constantIbLb1EES18_IbLb0EEEEDaS14_S15_EUlS14_E_NS1_11comp_targetILNS1_3genE2ELNS1_11target_archE906ELNS1_3gpuE6ELNS1_3repE0EEENS1_30default_config_static_selectorELNS0_4arch9wavefront6targetE1EEEvT1_: ; @_ZN7rocprim17ROCPRIM_400000_NS6detail17trampoline_kernelINS0_14default_configENS1_25partition_config_selectorILNS1_17partition_subalgoE9EllbEEZZNS1_14partition_implILS5_9ELb0ES3_jPKlN6thrust23THRUST_200600_302600_NS17counting_iteratorIlNSB_11use_defaultESD_SD_EEPNS0_10empty_typeENS0_5tupleIJPlSF_EEENSH_IJSI_SG_EEENS0_18inequality_wrapperIN6hipcub16HIPCUB_304000_NS8EqualityEEESI_JSF_EEE10hipError_tPvRmT3_T4_T5_T6_T7_T9_mT8_P12ihipStream_tbDpT10_ENKUlT_T0_E_clISt17integral_constantIbLb1EES18_IbLb0EEEEDaS14_S15_EUlS14_E_NS1_11comp_targetILNS1_3genE2ELNS1_11target_archE906ELNS1_3gpuE6ELNS1_3repE0EEENS1_30default_config_static_selectorELNS0_4arch9wavefront6targetE1EEEvT1_
; %bb.0:
	.section	.rodata,"a",@progbits
	.p2align	6, 0x0
	.amdhsa_kernel _ZN7rocprim17ROCPRIM_400000_NS6detail17trampoline_kernelINS0_14default_configENS1_25partition_config_selectorILNS1_17partition_subalgoE9EllbEEZZNS1_14partition_implILS5_9ELb0ES3_jPKlN6thrust23THRUST_200600_302600_NS17counting_iteratorIlNSB_11use_defaultESD_SD_EEPNS0_10empty_typeENS0_5tupleIJPlSF_EEENSH_IJSI_SG_EEENS0_18inequality_wrapperIN6hipcub16HIPCUB_304000_NS8EqualityEEESI_JSF_EEE10hipError_tPvRmT3_T4_T5_T6_T7_T9_mT8_P12ihipStream_tbDpT10_ENKUlT_T0_E_clISt17integral_constantIbLb1EES18_IbLb0EEEEDaS14_S15_EUlS14_E_NS1_11comp_targetILNS1_3genE2ELNS1_11target_archE906ELNS1_3gpuE6ELNS1_3repE0EEENS1_30default_config_static_selectorELNS0_4arch9wavefront6targetE1EEEvT1_
		.amdhsa_group_segment_fixed_size 0
		.amdhsa_private_segment_fixed_size 0
		.amdhsa_kernarg_size 112
		.amdhsa_user_sgpr_count 6
		.amdhsa_user_sgpr_private_segment_buffer 1
		.amdhsa_user_sgpr_dispatch_ptr 0
		.amdhsa_user_sgpr_queue_ptr 0
		.amdhsa_user_sgpr_kernarg_segment_ptr 1
		.amdhsa_user_sgpr_dispatch_id 0
		.amdhsa_user_sgpr_flat_scratch_init 0
		.amdhsa_user_sgpr_kernarg_preload_length 0
		.amdhsa_user_sgpr_kernarg_preload_offset 0
		.amdhsa_user_sgpr_private_segment_size 0
		.amdhsa_uses_dynamic_stack 0
		.amdhsa_system_sgpr_private_segment_wavefront_offset 0
		.amdhsa_system_sgpr_workgroup_id_x 1
		.amdhsa_system_sgpr_workgroup_id_y 0
		.amdhsa_system_sgpr_workgroup_id_z 0
		.amdhsa_system_sgpr_workgroup_info 0
		.amdhsa_system_vgpr_workitem_id 0
		.amdhsa_next_free_vgpr 1
		.amdhsa_next_free_sgpr 0
		.amdhsa_accum_offset 4
		.amdhsa_reserve_vcc 0
		.amdhsa_reserve_flat_scratch 0
		.amdhsa_float_round_mode_32 0
		.amdhsa_float_round_mode_16_64 0
		.amdhsa_float_denorm_mode_32 3
		.amdhsa_float_denorm_mode_16_64 3
		.amdhsa_dx10_clamp 1
		.amdhsa_ieee_mode 1
		.amdhsa_fp16_overflow 0
		.amdhsa_tg_split 0
		.amdhsa_exception_fp_ieee_invalid_op 0
		.amdhsa_exception_fp_denorm_src 0
		.amdhsa_exception_fp_ieee_div_zero 0
		.amdhsa_exception_fp_ieee_overflow 0
		.amdhsa_exception_fp_ieee_underflow 0
		.amdhsa_exception_fp_ieee_inexact 0
		.amdhsa_exception_int_div_zero 0
	.end_amdhsa_kernel
	.section	.text._ZN7rocprim17ROCPRIM_400000_NS6detail17trampoline_kernelINS0_14default_configENS1_25partition_config_selectorILNS1_17partition_subalgoE9EllbEEZZNS1_14partition_implILS5_9ELb0ES3_jPKlN6thrust23THRUST_200600_302600_NS17counting_iteratorIlNSB_11use_defaultESD_SD_EEPNS0_10empty_typeENS0_5tupleIJPlSF_EEENSH_IJSI_SG_EEENS0_18inequality_wrapperIN6hipcub16HIPCUB_304000_NS8EqualityEEESI_JSF_EEE10hipError_tPvRmT3_T4_T5_T6_T7_T9_mT8_P12ihipStream_tbDpT10_ENKUlT_T0_E_clISt17integral_constantIbLb1EES18_IbLb0EEEEDaS14_S15_EUlS14_E_NS1_11comp_targetILNS1_3genE2ELNS1_11target_archE906ELNS1_3gpuE6ELNS1_3repE0EEENS1_30default_config_static_selectorELNS0_4arch9wavefront6targetE1EEEvT1_,"axG",@progbits,_ZN7rocprim17ROCPRIM_400000_NS6detail17trampoline_kernelINS0_14default_configENS1_25partition_config_selectorILNS1_17partition_subalgoE9EllbEEZZNS1_14partition_implILS5_9ELb0ES3_jPKlN6thrust23THRUST_200600_302600_NS17counting_iteratorIlNSB_11use_defaultESD_SD_EEPNS0_10empty_typeENS0_5tupleIJPlSF_EEENSH_IJSI_SG_EEENS0_18inequality_wrapperIN6hipcub16HIPCUB_304000_NS8EqualityEEESI_JSF_EEE10hipError_tPvRmT3_T4_T5_T6_T7_T9_mT8_P12ihipStream_tbDpT10_ENKUlT_T0_E_clISt17integral_constantIbLb1EES18_IbLb0EEEEDaS14_S15_EUlS14_E_NS1_11comp_targetILNS1_3genE2ELNS1_11target_archE906ELNS1_3gpuE6ELNS1_3repE0EEENS1_30default_config_static_selectorELNS0_4arch9wavefront6targetE1EEEvT1_,comdat
.Lfunc_end64:
	.size	_ZN7rocprim17ROCPRIM_400000_NS6detail17trampoline_kernelINS0_14default_configENS1_25partition_config_selectorILNS1_17partition_subalgoE9EllbEEZZNS1_14partition_implILS5_9ELb0ES3_jPKlN6thrust23THRUST_200600_302600_NS17counting_iteratorIlNSB_11use_defaultESD_SD_EEPNS0_10empty_typeENS0_5tupleIJPlSF_EEENSH_IJSI_SG_EEENS0_18inequality_wrapperIN6hipcub16HIPCUB_304000_NS8EqualityEEESI_JSF_EEE10hipError_tPvRmT3_T4_T5_T6_T7_T9_mT8_P12ihipStream_tbDpT10_ENKUlT_T0_E_clISt17integral_constantIbLb1EES18_IbLb0EEEEDaS14_S15_EUlS14_E_NS1_11comp_targetILNS1_3genE2ELNS1_11target_archE906ELNS1_3gpuE6ELNS1_3repE0EEENS1_30default_config_static_selectorELNS0_4arch9wavefront6targetE1EEEvT1_, .Lfunc_end64-_ZN7rocprim17ROCPRIM_400000_NS6detail17trampoline_kernelINS0_14default_configENS1_25partition_config_selectorILNS1_17partition_subalgoE9EllbEEZZNS1_14partition_implILS5_9ELb0ES3_jPKlN6thrust23THRUST_200600_302600_NS17counting_iteratorIlNSB_11use_defaultESD_SD_EEPNS0_10empty_typeENS0_5tupleIJPlSF_EEENSH_IJSI_SG_EEENS0_18inequality_wrapperIN6hipcub16HIPCUB_304000_NS8EqualityEEESI_JSF_EEE10hipError_tPvRmT3_T4_T5_T6_T7_T9_mT8_P12ihipStream_tbDpT10_ENKUlT_T0_E_clISt17integral_constantIbLb1EES18_IbLb0EEEEDaS14_S15_EUlS14_E_NS1_11comp_targetILNS1_3genE2ELNS1_11target_archE906ELNS1_3gpuE6ELNS1_3repE0EEENS1_30default_config_static_selectorELNS0_4arch9wavefront6targetE1EEEvT1_
                                        ; -- End function
	.section	.AMDGPU.csdata,"",@progbits
; Kernel info:
; codeLenInByte = 0
; NumSgprs: 4
; NumVgprs: 0
; NumAgprs: 0
; TotalNumVgprs: 0
; ScratchSize: 0
; MemoryBound: 0
; FloatMode: 240
; IeeeMode: 1
; LDSByteSize: 0 bytes/workgroup (compile time only)
; SGPRBlocks: 0
; VGPRBlocks: 0
; NumSGPRsForWavesPerEU: 4
; NumVGPRsForWavesPerEU: 1
; AccumOffset: 4
; Occupancy: 8
; WaveLimiterHint : 0
; COMPUTE_PGM_RSRC2:SCRATCH_EN: 0
; COMPUTE_PGM_RSRC2:USER_SGPR: 6
; COMPUTE_PGM_RSRC2:TRAP_HANDLER: 0
; COMPUTE_PGM_RSRC2:TGID_X_EN: 1
; COMPUTE_PGM_RSRC2:TGID_Y_EN: 0
; COMPUTE_PGM_RSRC2:TGID_Z_EN: 0
; COMPUTE_PGM_RSRC2:TIDIG_COMP_CNT: 0
; COMPUTE_PGM_RSRC3_GFX90A:ACCUM_OFFSET: 0
; COMPUTE_PGM_RSRC3_GFX90A:TG_SPLIT: 0
	.section	.text._ZN7rocprim17ROCPRIM_400000_NS6detail17trampoline_kernelINS0_14default_configENS1_25partition_config_selectorILNS1_17partition_subalgoE9EllbEEZZNS1_14partition_implILS5_9ELb0ES3_jPKlN6thrust23THRUST_200600_302600_NS17counting_iteratorIlNSB_11use_defaultESD_SD_EEPNS0_10empty_typeENS0_5tupleIJPlSF_EEENSH_IJSI_SG_EEENS0_18inequality_wrapperIN6hipcub16HIPCUB_304000_NS8EqualityEEESI_JSF_EEE10hipError_tPvRmT3_T4_T5_T6_T7_T9_mT8_P12ihipStream_tbDpT10_ENKUlT_T0_E_clISt17integral_constantIbLb1EES18_IbLb0EEEEDaS14_S15_EUlS14_E_NS1_11comp_targetILNS1_3genE10ELNS1_11target_archE1200ELNS1_3gpuE4ELNS1_3repE0EEENS1_30default_config_static_selectorELNS0_4arch9wavefront6targetE1EEEvT1_,"axG",@progbits,_ZN7rocprim17ROCPRIM_400000_NS6detail17trampoline_kernelINS0_14default_configENS1_25partition_config_selectorILNS1_17partition_subalgoE9EllbEEZZNS1_14partition_implILS5_9ELb0ES3_jPKlN6thrust23THRUST_200600_302600_NS17counting_iteratorIlNSB_11use_defaultESD_SD_EEPNS0_10empty_typeENS0_5tupleIJPlSF_EEENSH_IJSI_SG_EEENS0_18inequality_wrapperIN6hipcub16HIPCUB_304000_NS8EqualityEEESI_JSF_EEE10hipError_tPvRmT3_T4_T5_T6_T7_T9_mT8_P12ihipStream_tbDpT10_ENKUlT_T0_E_clISt17integral_constantIbLb1EES18_IbLb0EEEEDaS14_S15_EUlS14_E_NS1_11comp_targetILNS1_3genE10ELNS1_11target_archE1200ELNS1_3gpuE4ELNS1_3repE0EEENS1_30default_config_static_selectorELNS0_4arch9wavefront6targetE1EEEvT1_,comdat
	.protected	_ZN7rocprim17ROCPRIM_400000_NS6detail17trampoline_kernelINS0_14default_configENS1_25partition_config_selectorILNS1_17partition_subalgoE9EllbEEZZNS1_14partition_implILS5_9ELb0ES3_jPKlN6thrust23THRUST_200600_302600_NS17counting_iteratorIlNSB_11use_defaultESD_SD_EEPNS0_10empty_typeENS0_5tupleIJPlSF_EEENSH_IJSI_SG_EEENS0_18inequality_wrapperIN6hipcub16HIPCUB_304000_NS8EqualityEEESI_JSF_EEE10hipError_tPvRmT3_T4_T5_T6_T7_T9_mT8_P12ihipStream_tbDpT10_ENKUlT_T0_E_clISt17integral_constantIbLb1EES18_IbLb0EEEEDaS14_S15_EUlS14_E_NS1_11comp_targetILNS1_3genE10ELNS1_11target_archE1200ELNS1_3gpuE4ELNS1_3repE0EEENS1_30default_config_static_selectorELNS0_4arch9wavefront6targetE1EEEvT1_ ; -- Begin function _ZN7rocprim17ROCPRIM_400000_NS6detail17trampoline_kernelINS0_14default_configENS1_25partition_config_selectorILNS1_17partition_subalgoE9EllbEEZZNS1_14partition_implILS5_9ELb0ES3_jPKlN6thrust23THRUST_200600_302600_NS17counting_iteratorIlNSB_11use_defaultESD_SD_EEPNS0_10empty_typeENS0_5tupleIJPlSF_EEENSH_IJSI_SG_EEENS0_18inequality_wrapperIN6hipcub16HIPCUB_304000_NS8EqualityEEESI_JSF_EEE10hipError_tPvRmT3_T4_T5_T6_T7_T9_mT8_P12ihipStream_tbDpT10_ENKUlT_T0_E_clISt17integral_constantIbLb1EES18_IbLb0EEEEDaS14_S15_EUlS14_E_NS1_11comp_targetILNS1_3genE10ELNS1_11target_archE1200ELNS1_3gpuE4ELNS1_3repE0EEENS1_30default_config_static_selectorELNS0_4arch9wavefront6targetE1EEEvT1_
	.globl	_ZN7rocprim17ROCPRIM_400000_NS6detail17trampoline_kernelINS0_14default_configENS1_25partition_config_selectorILNS1_17partition_subalgoE9EllbEEZZNS1_14partition_implILS5_9ELb0ES3_jPKlN6thrust23THRUST_200600_302600_NS17counting_iteratorIlNSB_11use_defaultESD_SD_EEPNS0_10empty_typeENS0_5tupleIJPlSF_EEENSH_IJSI_SG_EEENS0_18inequality_wrapperIN6hipcub16HIPCUB_304000_NS8EqualityEEESI_JSF_EEE10hipError_tPvRmT3_T4_T5_T6_T7_T9_mT8_P12ihipStream_tbDpT10_ENKUlT_T0_E_clISt17integral_constantIbLb1EES18_IbLb0EEEEDaS14_S15_EUlS14_E_NS1_11comp_targetILNS1_3genE10ELNS1_11target_archE1200ELNS1_3gpuE4ELNS1_3repE0EEENS1_30default_config_static_selectorELNS0_4arch9wavefront6targetE1EEEvT1_
	.p2align	8
	.type	_ZN7rocprim17ROCPRIM_400000_NS6detail17trampoline_kernelINS0_14default_configENS1_25partition_config_selectorILNS1_17partition_subalgoE9EllbEEZZNS1_14partition_implILS5_9ELb0ES3_jPKlN6thrust23THRUST_200600_302600_NS17counting_iteratorIlNSB_11use_defaultESD_SD_EEPNS0_10empty_typeENS0_5tupleIJPlSF_EEENSH_IJSI_SG_EEENS0_18inequality_wrapperIN6hipcub16HIPCUB_304000_NS8EqualityEEESI_JSF_EEE10hipError_tPvRmT3_T4_T5_T6_T7_T9_mT8_P12ihipStream_tbDpT10_ENKUlT_T0_E_clISt17integral_constantIbLb1EES18_IbLb0EEEEDaS14_S15_EUlS14_E_NS1_11comp_targetILNS1_3genE10ELNS1_11target_archE1200ELNS1_3gpuE4ELNS1_3repE0EEENS1_30default_config_static_selectorELNS0_4arch9wavefront6targetE1EEEvT1_,@function
_ZN7rocprim17ROCPRIM_400000_NS6detail17trampoline_kernelINS0_14default_configENS1_25partition_config_selectorILNS1_17partition_subalgoE9EllbEEZZNS1_14partition_implILS5_9ELb0ES3_jPKlN6thrust23THRUST_200600_302600_NS17counting_iteratorIlNSB_11use_defaultESD_SD_EEPNS0_10empty_typeENS0_5tupleIJPlSF_EEENSH_IJSI_SG_EEENS0_18inequality_wrapperIN6hipcub16HIPCUB_304000_NS8EqualityEEESI_JSF_EEE10hipError_tPvRmT3_T4_T5_T6_T7_T9_mT8_P12ihipStream_tbDpT10_ENKUlT_T0_E_clISt17integral_constantIbLb1EES18_IbLb0EEEEDaS14_S15_EUlS14_E_NS1_11comp_targetILNS1_3genE10ELNS1_11target_archE1200ELNS1_3gpuE4ELNS1_3repE0EEENS1_30default_config_static_selectorELNS0_4arch9wavefront6targetE1EEEvT1_: ; @_ZN7rocprim17ROCPRIM_400000_NS6detail17trampoline_kernelINS0_14default_configENS1_25partition_config_selectorILNS1_17partition_subalgoE9EllbEEZZNS1_14partition_implILS5_9ELb0ES3_jPKlN6thrust23THRUST_200600_302600_NS17counting_iteratorIlNSB_11use_defaultESD_SD_EEPNS0_10empty_typeENS0_5tupleIJPlSF_EEENSH_IJSI_SG_EEENS0_18inequality_wrapperIN6hipcub16HIPCUB_304000_NS8EqualityEEESI_JSF_EEE10hipError_tPvRmT3_T4_T5_T6_T7_T9_mT8_P12ihipStream_tbDpT10_ENKUlT_T0_E_clISt17integral_constantIbLb1EES18_IbLb0EEEEDaS14_S15_EUlS14_E_NS1_11comp_targetILNS1_3genE10ELNS1_11target_archE1200ELNS1_3gpuE4ELNS1_3repE0EEENS1_30default_config_static_selectorELNS0_4arch9wavefront6targetE1EEEvT1_
; %bb.0:
	.section	.rodata,"a",@progbits
	.p2align	6, 0x0
	.amdhsa_kernel _ZN7rocprim17ROCPRIM_400000_NS6detail17trampoline_kernelINS0_14default_configENS1_25partition_config_selectorILNS1_17partition_subalgoE9EllbEEZZNS1_14partition_implILS5_9ELb0ES3_jPKlN6thrust23THRUST_200600_302600_NS17counting_iteratorIlNSB_11use_defaultESD_SD_EEPNS0_10empty_typeENS0_5tupleIJPlSF_EEENSH_IJSI_SG_EEENS0_18inequality_wrapperIN6hipcub16HIPCUB_304000_NS8EqualityEEESI_JSF_EEE10hipError_tPvRmT3_T4_T5_T6_T7_T9_mT8_P12ihipStream_tbDpT10_ENKUlT_T0_E_clISt17integral_constantIbLb1EES18_IbLb0EEEEDaS14_S15_EUlS14_E_NS1_11comp_targetILNS1_3genE10ELNS1_11target_archE1200ELNS1_3gpuE4ELNS1_3repE0EEENS1_30default_config_static_selectorELNS0_4arch9wavefront6targetE1EEEvT1_
		.amdhsa_group_segment_fixed_size 0
		.amdhsa_private_segment_fixed_size 0
		.amdhsa_kernarg_size 112
		.amdhsa_user_sgpr_count 6
		.amdhsa_user_sgpr_private_segment_buffer 1
		.amdhsa_user_sgpr_dispatch_ptr 0
		.amdhsa_user_sgpr_queue_ptr 0
		.amdhsa_user_sgpr_kernarg_segment_ptr 1
		.amdhsa_user_sgpr_dispatch_id 0
		.amdhsa_user_sgpr_flat_scratch_init 0
		.amdhsa_user_sgpr_kernarg_preload_length 0
		.amdhsa_user_sgpr_kernarg_preload_offset 0
		.amdhsa_user_sgpr_private_segment_size 0
		.amdhsa_uses_dynamic_stack 0
		.amdhsa_system_sgpr_private_segment_wavefront_offset 0
		.amdhsa_system_sgpr_workgroup_id_x 1
		.amdhsa_system_sgpr_workgroup_id_y 0
		.amdhsa_system_sgpr_workgroup_id_z 0
		.amdhsa_system_sgpr_workgroup_info 0
		.amdhsa_system_vgpr_workitem_id 0
		.amdhsa_next_free_vgpr 1
		.amdhsa_next_free_sgpr 0
		.amdhsa_accum_offset 4
		.amdhsa_reserve_vcc 0
		.amdhsa_reserve_flat_scratch 0
		.amdhsa_float_round_mode_32 0
		.amdhsa_float_round_mode_16_64 0
		.amdhsa_float_denorm_mode_32 3
		.amdhsa_float_denorm_mode_16_64 3
		.amdhsa_dx10_clamp 1
		.amdhsa_ieee_mode 1
		.amdhsa_fp16_overflow 0
		.amdhsa_tg_split 0
		.amdhsa_exception_fp_ieee_invalid_op 0
		.amdhsa_exception_fp_denorm_src 0
		.amdhsa_exception_fp_ieee_div_zero 0
		.amdhsa_exception_fp_ieee_overflow 0
		.amdhsa_exception_fp_ieee_underflow 0
		.amdhsa_exception_fp_ieee_inexact 0
		.amdhsa_exception_int_div_zero 0
	.end_amdhsa_kernel
	.section	.text._ZN7rocprim17ROCPRIM_400000_NS6detail17trampoline_kernelINS0_14default_configENS1_25partition_config_selectorILNS1_17partition_subalgoE9EllbEEZZNS1_14partition_implILS5_9ELb0ES3_jPKlN6thrust23THRUST_200600_302600_NS17counting_iteratorIlNSB_11use_defaultESD_SD_EEPNS0_10empty_typeENS0_5tupleIJPlSF_EEENSH_IJSI_SG_EEENS0_18inequality_wrapperIN6hipcub16HIPCUB_304000_NS8EqualityEEESI_JSF_EEE10hipError_tPvRmT3_T4_T5_T6_T7_T9_mT8_P12ihipStream_tbDpT10_ENKUlT_T0_E_clISt17integral_constantIbLb1EES18_IbLb0EEEEDaS14_S15_EUlS14_E_NS1_11comp_targetILNS1_3genE10ELNS1_11target_archE1200ELNS1_3gpuE4ELNS1_3repE0EEENS1_30default_config_static_selectorELNS0_4arch9wavefront6targetE1EEEvT1_,"axG",@progbits,_ZN7rocprim17ROCPRIM_400000_NS6detail17trampoline_kernelINS0_14default_configENS1_25partition_config_selectorILNS1_17partition_subalgoE9EllbEEZZNS1_14partition_implILS5_9ELb0ES3_jPKlN6thrust23THRUST_200600_302600_NS17counting_iteratorIlNSB_11use_defaultESD_SD_EEPNS0_10empty_typeENS0_5tupleIJPlSF_EEENSH_IJSI_SG_EEENS0_18inequality_wrapperIN6hipcub16HIPCUB_304000_NS8EqualityEEESI_JSF_EEE10hipError_tPvRmT3_T4_T5_T6_T7_T9_mT8_P12ihipStream_tbDpT10_ENKUlT_T0_E_clISt17integral_constantIbLb1EES18_IbLb0EEEEDaS14_S15_EUlS14_E_NS1_11comp_targetILNS1_3genE10ELNS1_11target_archE1200ELNS1_3gpuE4ELNS1_3repE0EEENS1_30default_config_static_selectorELNS0_4arch9wavefront6targetE1EEEvT1_,comdat
.Lfunc_end65:
	.size	_ZN7rocprim17ROCPRIM_400000_NS6detail17trampoline_kernelINS0_14default_configENS1_25partition_config_selectorILNS1_17partition_subalgoE9EllbEEZZNS1_14partition_implILS5_9ELb0ES3_jPKlN6thrust23THRUST_200600_302600_NS17counting_iteratorIlNSB_11use_defaultESD_SD_EEPNS0_10empty_typeENS0_5tupleIJPlSF_EEENSH_IJSI_SG_EEENS0_18inequality_wrapperIN6hipcub16HIPCUB_304000_NS8EqualityEEESI_JSF_EEE10hipError_tPvRmT3_T4_T5_T6_T7_T9_mT8_P12ihipStream_tbDpT10_ENKUlT_T0_E_clISt17integral_constantIbLb1EES18_IbLb0EEEEDaS14_S15_EUlS14_E_NS1_11comp_targetILNS1_3genE10ELNS1_11target_archE1200ELNS1_3gpuE4ELNS1_3repE0EEENS1_30default_config_static_selectorELNS0_4arch9wavefront6targetE1EEEvT1_, .Lfunc_end65-_ZN7rocprim17ROCPRIM_400000_NS6detail17trampoline_kernelINS0_14default_configENS1_25partition_config_selectorILNS1_17partition_subalgoE9EllbEEZZNS1_14partition_implILS5_9ELb0ES3_jPKlN6thrust23THRUST_200600_302600_NS17counting_iteratorIlNSB_11use_defaultESD_SD_EEPNS0_10empty_typeENS0_5tupleIJPlSF_EEENSH_IJSI_SG_EEENS0_18inequality_wrapperIN6hipcub16HIPCUB_304000_NS8EqualityEEESI_JSF_EEE10hipError_tPvRmT3_T4_T5_T6_T7_T9_mT8_P12ihipStream_tbDpT10_ENKUlT_T0_E_clISt17integral_constantIbLb1EES18_IbLb0EEEEDaS14_S15_EUlS14_E_NS1_11comp_targetILNS1_3genE10ELNS1_11target_archE1200ELNS1_3gpuE4ELNS1_3repE0EEENS1_30default_config_static_selectorELNS0_4arch9wavefront6targetE1EEEvT1_
                                        ; -- End function
	.section	.AMDGPU.csdata,"",@progbits
; Kernel info:
; codeLenInByte = 0
; NumSgprs: 4
; NumVgprs: 0
; NumAgprs: 0
; TotalNumVgprs: 0
; ScratchSize: 0
; MemoryBound: 0
; FloatMode: 240
; IeeeMode: 1
; LDSByteSize: 0 bytes/workgroup (compile time only)
; SGPRBlocks: 0
; VGPRBlocks: 0
; NumSGPRsForWavesPerEU: 4
; NumVGPRsForWavesPerEU: 1
; AccumOffset: 4
; Occupancy: 8
; WaveLimiterHint : 0
; COMPUTE_PGM_RSRC2:SCRATCH_EN: 0
; COMPUTE_PGM_RSRC2:USER_SGPR: 6
; COMPUTE_PGM_RSRC2:TRAP_HANDLER: 0
; COMPUTE_PGM_RSRC2:TGID_X_EN: 1
; COMPUTE_PGM_RSRC2:TGID_Y_EN: 0
; COMPUTE_PGM_RSRC2:TGID_Z_EN: 0
; COMPUTE_PGM_RSRC2:TIDIG_COMP_CNT: 0
; COMPUTE_PGM_RSRC3_GFX90A:ACCUM_OFFSET: 0
; COMPUTE_PGM_RSRC3_GFX90A:TG_SPLIT: 0
	.section	.text._ZN7rocprim17ROCPRIM_400000_NS6detail17trampoline_kernelINS0_14default_configENS1_25partition_config_selectorILNS1_17partition_subalgoE9EllbEEZZNS1_14partition_implILS5_9ELb0ES3_jPKlN6thrust23THRUST_200600_302600_NS17counting_iteratorIlNSB_11use_defaultESD_SD_EEPNS0_10empty_typeENS0_5tupleIJPlSF_EEENSH_IJSI_SG_EEENS0_18inequality_wrapperIN6hipcub16HIPCUB_304000_NS8EqualityEEESI_JSF_EEE10hipError_tPvRmT3_T4_T5_T6_T7_T9_mT8_P12ihipStream_tbDpT10_ENKUlT_T0_E_clISt17integral_constantIbLb1EES18_IbLb0EEEEDaS14_S15_EUlS14_E_NS1_11comp_targetILNS1_3genE9ELNS1_11target_archE1100ELNS1_3gpuE3ELNS1_3repE0EEENS1_30default_config_static_selectorELNS0_4arch9wavefront6targetE1EEEvT1_,"axG",@progbits,_ZN7rocprim17ROCPRIM_400000_NS6detail17trampoline_kernelINS0_14default_configENS1_25partition_config_selectorILNS1_17partition_subalgoE9EllbEEZZNS1_14partition_implILS5_9ELb0ES3_jPKlN6thrust23THRUST_200600_302600_NS17counting_iteratorIlNSB_11use_defaultESD_SD_EEPNS0_10empty_typeENS0_5tupleIJPlSF_EEENSH_IJSI_SG_EEENS0_18inequality_wrapperIN6hipcub16HIPCUB_304000_NS8EqualityEEESI_JSF_EEE10hipError_tPvRmT3_T4_T5_T6_T7_T9_mT8_P12ihipStream_tbDpT10_ENKUlT_T0_E_clISt17integral_constantIbLb1EES18_IbLb0EEEEDaS14_S15_EUlS14_E_NS1_11comp_targetILNS1_3genE9ELNS1_11target_archE1100ELNS1_3gpuE3ELNS1_3repE0EEENS1_30default_config_static_selectorELNS0_4arch9wavefront6targetE1EEEvT1_,comdat
	.protected	_ZN7rocprim17ROCPRIM_400000_NS6detail17trampoline_kernelINS0_14default_configENS1_25partition_config_selectorILNS1_17partition_subalgoE9EllbEEZZNS1_14partition_implILS5_9ELb0ES3_jPKlN6thrust23THRUST_200600_302600_NS17counting_iteratorIlNSB_11use_defaultESD_SD_EEPNS0_10empty_typeENS0_5tupleIJPlSF_EEENSH_IJSI_SG_EEENS0_18inequality_wrapperIN6hipcub16HIPCUB_304000_NS8EqualityEEESI_JSF_EEE10hipError_tPvRmT3_T4_T5_T6_T7_T9_mT8_P12ihipStream_tbDpT10_ENKUlT_T0_E_clISt17integral_constantIbLb1EES18_IbLb0EEEEDaS14_S15_EUlS14_E_NS1_11comp_targetILNS1_3genE9ELNS1_11target_archE1100ELNS1_3gpuE3ELNS1_3repE0EEENS1_30default_config_static_selectorELNS0_4arch9wavefront6targetE1EEEvT1_ ; -- Begin function _ZN7rocprim17ROCPRIM_400000_NS6detail17trampoline_kernelINS0_14default_configENS1_25partition_config_selectorILNS1_17partition_subalgoE9EllbEEZZNS1_14partition_implILS5_9ELb0ES3_jPKlN6thrust23THRUST_200600_302600_NS17counting_iteratorIlNSB_11use_defaultESD_SD_EEPNS0_10empty_typeENS0_5tupleIJPlSF_EEENSH_IJSI_SG_EEENS0_18inequality_wrapperIN6hipcub16HIPCUB_304000_NS8EqualityEEESI_JSF_EEE10hipError_tPvRmT3_T4_T5_T6_T7_T9_mT8_P12ihipStream_tbDpT10_ENKUlT_T0_E_clISt17integral_constantIbLb1EES18_IbLb0EEEEDaS14_S15_EUlS14_E_NS1_11comp_targetILNS1_3genE9ELNS1_11target_archE1100ELNS1_3gpuE3ELNS1_3repE0EEENS1_30default_config_static_selectorELNS0_4arch9wavefront6targetE1EEEvT1_
	.globl	_ZN7rocprim17ROCPRIM_400000_NS6detail17trampoline_kernelINS0_14default_configENS1_25partition_config_selectorILNS1_17partition_subalgoE9EllbEEZZNS1_14partition_implILS5_9ELb0ES3_jPKlN6thrust23THRUST_200600_302600_NS17counting_iteratorIlNSB_11use_defaultESD_SD_EEPNS0_10empty_typeENS0_5tupleIJPlSF_EEENSH_IJSI_SG_EEENS0_18inequality_wrapperIN6hipcub16HIPCUB_304000_NS8EqualityEEESI_JSF_EEE10hipError_tPvRmT3_T4_T5_T6_T7_T9_mT8_P12ihipStream_tbDpT10_ENKUlT_T0_E_clISt17integral_constantIbLb1EES18_IbLb0EEEEDaS14_S15_EUlS14_E_NS1_11comp_targetILNS1_3genE9ELNS1_11target_archE1100ELNS1_3gpuE3ELNS1_3repE0EEENS1_30default_config_static_selectorELNS0_4arch9wavefront6targetE1EEEvT1_
	.p2align	8
	.type	_ZN7rocprim17ROCPRIM_400000_NS6detail17trampoline_kernelINS0_14default_configENS1_25partition_config_selectorILNS1_17partition_subalgoE9EllbEEZZNS1_14partition_implILS5_9ELb0ES3_jPKlN6thrust23THRUST_200600_302600_NS17counting_iteratorIlNSB_11use_defaultESD_SD_EEPNS0_10empty_typeENS0_5tupleIJPlSF_EEENSH_IJSI_SG_EEENS0_18inequality_wrapperIN6hipcub16HIPCUB_304000_NS8EqualityEEESI_JSF_EEE10hipError_tPvRmT3_T4_T5_T6_T7_T9_mT8_P12ihipStream_tbDpT10_ENKUlT_T0_E_clISt17integral_constantIbLb1EES18_IbLb0EEEEDaS14_S15_EUlS14_E_NS1_11comp_targetILNS1_3genE9ELNS1_11target_archE1100ELNS1_3gpuE3ELNS1_3repE0EEENS1_30default_config_static_selectorELNS0_4arch9wavefront6targetE1EEEvT1_,@function
_ZN7rocprim17ROCPRIM_400000_NS6detail17trampoline_kernelINS0_14default_configENS1_25partition_config_selectorILNS1_17partition_subalgoE9EllbEEZZNS1_14partition_implILS5_9ELb0ES3_jPKlN6thrust23THRUST_200600_302600_NS17counting_iteratorIlNSB_11use_defaultESD_SD_EEPNS0_10empty_typeENS0_5tupleIJPlSF_EEENSH_IJSI_SG_EEENS0_18inequality_wrapperIN6hipcub16HIPCUB_304000_NS8EqualityEEESI_JSF_EEE10hipError_tPvRmT3_T4_T5_T6_T7_T9_mT8_P12ihipStream_tbDpT10_ENKUlT_T0_E_clISt17integral_constantIbLb1EES18_IbLb0EEEEDaS14_S15_EUlS14_E_NS1_11comp_targetILNS1_3genE9ELNS1_11target_archE1100ELNS1_3gpuE3ELNS1_3repE0EEENS1_30default_config_static_selectorELNS0_4arch9wavefront6targetE1EEEvT1_: ; @_ZN7rocprim17ROCPRIM_400000_NS6detail17trampoline_kernelINS0_14default_configENS1_25partition_config_selectorILNS1_17partition_subalgoE9EllbEEZZNS1_14partition_implILS5_9ELb0ES3_jPKlN6thrust23THRUST_200600_302600_NS17counting_iteratorIlNSB_11use_defaultESD_SD_EEPNS0_10empty_typeENS0_5tupleIJPlSF_EEENSH_IJSI_SG_EEENS0_18inequality_wrapperIN6hipcub16HIPCUB_304000_NS8EqualityEEESI_JSF_EEE10hipError_tPvRmT3_T4_T5_T6_T7_T9_mT8_P12ihipStream_tbDpT10_ENKUlT_T0_E_clISt17integral_constantIbLb1EES18_IbLb0EEEEDaS14_S15_EUlS14_E_NS1_11comp_targetILNS1_3genE9ELNS1_11target_archE1100ELNS1_3gpuE3ELNS1_3repE0EEENS1_30default_config_static_selectorELNS0_4arch9wavefront6targetE1EEEvT1_
; %bb.0:
	.section	.rodata,"a",@progbits
	.p2align	6, 0x0
	.amdhsa_kernel _ZN7rocprim17ROCPRIM_400000_NS6detail17trampoline_kernelINS0_14default_configENS1_25partition_config_selectorILNS1_17partition_subalgoE9EllbEEZZNS1_14partition_implILS5_9ELb0ES3_jPKlN6thrust23THRUST_200600_302600_NS17counting_iteratorIlNSB_11use_defaultESD_SD_EEPNS0_10empty_typeENS0_5tupleIJPlSF_EEENSH_IJSI_SG_EEENS0_18inequality_wrapperIN6hipcub16HIPCUB_304000_NS8EqualityEEESI_JSF_EEE10hipError_tPvRmT3_T4_T5_T6_T7_T9_mT8_P12ihipStream_tbDpT10_ENKUlT_T0_E_clISt17integral_constantIbLb1EES18_IbLb0EEEEDaS14_S15_EUlS14_E_NS1_11comp_targetILNS1_3genE9ELNS1_11target_archE1100ELNS1_3gpuE3ELNS1_3repE0EEENS1_30default_config_static_selectorELNS0_4arch9wavefront6targetE1EEEvT1_
		.amdhsa_group_segment_fixed_size 0
		.amdhsa_private_segment_fixed_size 0
		.amdhsa_kernarg_size 112
		.amdhsa_user_sgpr_count 6
		.amdhsa_user_sgpr_private_segment_buffer 1
		.amdhsa_user_sgpr_dispatch_ptr 0
		.amdhsa_user_sgpr_queue_ptr 0
		.amdhsa_user_sgpr_kernarg_segment_ptr 1
		.amdhsa_user_sgpr_dispatch_id 0
		.amdhsa_user_sgpr_flat_scratch_init 0
		.amdhsa_user_sgpr_kernarg_preload_length 0
		.amdhsa_user_sgpr_kernarg_preload_offset 0
		.amdhsa_user_sgpr_private_segment_size 0
		.amdhsa_uses_dynamic_stack 0
		.amdhsa_system_sgpr_private_segment_wavefront_offset 0
		.amdhsa_system_sgpr_workgroup_id_x 1
		.amdhsa_system_sgpr_workgroup_id_y 0
		.amdhsa_system_sgpr_workgroup_id_z 0
		.amdhsa_system_sgpr_workgroup_info 0
		.amdhsa_system_vgpr_workitem_id 0
		.amdhsa_next_free_vgpr 1
		.amdhsa_next_free_sgpr 0
		.amdhsa_accum_offset 4
		.amdhsa_reserve_vcc 0
		.amdhsa_reserve_flat_scratch 0
		.amdhsa_float_round_mode_32 0
		.amdhsa_float_round_mode_16_64 0
		.amdhsa_float_denorm_mode_32 3
		.amdhsa_float_denorm_mode_16_64 3
		.amdhsa_dx10_clamp 1
		.amdhsa_ieee_mode 1
		.amdhsa_fp16_overflow 0
		.amdhsa_tg_split 0
		.amdhsa_exception_fp_ieee_invalid_op 0
		.amdhsa_exception_fp_denorm_src 0
		.amdhsa_exception_fp_ieee_div_zero 0
		.amdhsa_exception_fp_ieee_overflow 0
		.amdhsa_exception_fp_ieee_underflow 0
		.amdhsa_exception_fp_ieee_inexact 0
		.amdhsa_exception_int_div_zero 0
	.end_amdhsa_kernel
	.section	.text._ZN7rocprim17ROCPRIM_400000_NS6detail17trampoline_kernelINS0_14default_configENS1_25partition_config_selectorILNS1_17partition_subalgoE9EllbEEZZNS1_14partition_implILS5_9ELb0ES3_jPKlN6thrust23THRUST_200600_302600_NS17counting_iteratorIlNSB_11use_defaultESD_SD_EEPNS0_10empty_typeENS0_5tupleIJPlSF_EEENSH_IJSI_SG_EEENS0_18inequality_wrapperIN6hipcub16HIPCUB_304000_NS8EqualityEEESI_JSF_EEE10hipError_tPvRmT3_T4_T5_T6_T7_T9_mT8_P12ihipStream_tbDpT10_ENKUlT_T0_E_clISt17integral_constantIbLb1EES18_IbLb0EEEEDaS14_S15_EUlS14_E_NS1_11comp_targetILNS1_3genE9ELNS1_11target_archE1100ELNS1_3gpuE3ELNS1_3repE0EEENS1_30default_config_static_selectorELNS0_4arch9wavefront6targetE1EEEvT1_,"axG",@progbits,_ZN7rocprim17ROCPRIM_400000_NS6detail17trampoline_kernelINS0_14default_configENS1_25partition_config_selectorILNS1_17partition_subalgoE9EllbEEZZNS1_14partition_implILS5_9ELb0ES3_jPKlN6thrust23THRUST_200600_302600_NS17counting_iteratorIlNSB_11use_defaultESD_SD_EEPNS0_10empty_typeENS0_5tupleIJPlSF_EEENSH_IJSI_SG_EEENS0_18inequality_wrapperIN6hipcub16HIPCUB_304000_NS8EqualityEEESI_JSF_EEE10hipError_tPvRmT3_T4_T5_T6_T7_T9_mT8_P12ihipStream_tbDpT10_ENKUlT_T0_E_clISt17integral_constantIbLb1EES18_IbLb0EEEEDaS14_S15_EUlS14_E_NS1_11comp_targetILNS1_3genE9ELNS1_11target_archE1100ELNS1_3gpuE3ELNS1_3repE0EEENS1_30default_config_static_selectorELNS0_4arch9wavefront6targetE1EEEvT1_,comdat
.Lfunc_end66:
	.size	_ZN7rocprim17ROCPRIM_400000_NS6detail17trampoline_kernelINS0_14default_configENS1_25partition_config_selectorILNS1_17partition_subalgoE9EllbEEZZNS1_14partition_implILS5_9ELb0ES3_jPKlN6thrust23THRUST_200600_302600_NS17counting_iteratorIlNSB_11use_defaultESD_SD_EEPNS0_10empty_typeENS0_5tupleIJPlSF_EEENSH_IJSI_SG_EEENS0_18inequality_wrapperIN6hipcub16HIPCUB_304000_NS8EqualityEEESI_JSF_EEE10hipError_tPvRmT3_T4_T5_T6_T7_T9_mT8_P12ihipStream_tbDpT10_ENKUlT_T0_E_clISt17integral_constantIbLb1EES18_IbLb0EEEEDaS14_S15_EUlS14_E_NS1_11comp_targetILNS1_3genE9ELNS1_11target_archE1100ELNS1_3gpuE3ELNS1_3repE0EEENS1_30default_config_static_selectorELNS0_4arch9wavefront6targetE1EEEvT1_, .Lfunc_end66-_ZN7rocprim17ROCPRIM_400000_NS6detail17trampoline_kernelINS0_14default_configENS1_25partition_config_selectorILNS1_17partition_subalgoE9EllbEEZZNS1_14partition_implILS5_9ELb0ES3_jPKlN6thrust23THRUST_200600_302600_NS17counting_iteratorIlNSB_11use_defaultESD_SD_EEPNS0_10empty_typeENS0_5tupleIJPlSF_EEENSH_IJSI_SG_EEENS0_18inequality_wrapperIN6hipcub16HIPCUB_304000_NS8EqualityEEESI_JSF_EEE10hipError_tPvRmT3_T4_T5_T6_T7_T9_mT8_P12ihipStream_tbDpT10_ENKUlT_T0_E_clISt17integral_constantIbLb1EES18_IbLb0EEEEDaS14_S15_EUlS14_E_NS1_11comp_targetILNS1_3genE9ELNS1_11target_archE1100ELNS1_3gpuE3ELNS1_3repE0EEENS1_30default_config_static_selectorELNS0_4arch9wavefront6targetE1EEEvT1_
                                        ; -- End function
	.section	.AMDGPU.csdata,"",@progbits
; Kernel info:
; codeLenInByte = 0
; NumSgprs: 4
; NumVgprs: 0
; NumAgprs: 0
; TotalNumVgprs: 0
; ScratchSize: 0
; MemoryBound: 0
; FloatMode: 240
; IeeeMode: 1
; LDSByteSize: 0 bytes/workgroup (compile time only)
; SGPRBlocks: 0
; VGPRBlocks: 0
; NumSGPRsForWavesPerEU: 4
; NumVGPRsForWavesPerEU: 1
; AccumOffset: 4
; Occupancy: 8
; WaveLimiterHint : 0
; COMPUTE_PGM_RSRC2:SCRATCH_EN: 0
; COMPUTE_PGM_RSRC2:USER_SGPR: 6
; COMPUTE_PGM_RSRC2:TRAP_HANDLER: 0
; COMPUTE_PGM_RSRC2:TGID_X_EN: 1
; COMPUTE_PGM_RSRC2:TGID_Y_EN: 0
; COMPUTE_PGM_RSRC2:TGID_Z_EN: 0
; COMPUTE_PGM_RSRC2:TIDIG_COMP_CNT: 0
; COMPUTE_PGM_RSRC3_GFX90A:ACCUM_OFFSET: 0
; COMPUTE_PGM_RSRC3_GFX90A:TG_SPLIT: 0
	.section	.text._ZN7rocprim17ROCPRIM_400000_NS6detail17trampoline_kernelINS0_14default_configENS1_25partition_config_selectorILNS1_17partition_subalgoE9EllbEEZZNS1_14partition_implILS5_9ELb0ES3_jPKlN6thrust23THRUST_200600_302600_NS17counting_iteratorIlNSB_11use_defaultESD_SD_EEPNS0_10empty_typeENS0_5tupleIJPlSF_EEENSH_IJSI_SG_EEENS0_18inequality_wrapperIN6hipcub16HIPCUB_304000_NS8EqualityEEESI_JSF_EEE10hipError_tPvRmT3_T4_T5_T6_T7_T9_mT8_P12ihipStream_tbDpT10_ENKUlT_T0_E_clISt17integral_constantIbLb1EES18_IbLb0EEEEDaS14_S15_EUlS14_E_NS1_11comp_targetILNS1_3genE8ELNS1_11target_archE1030ELNS1_3gpuE2ELNS1_3repE0EEENS1_30default_config_static_selectorELNS0_4arch9wavefront6targetE1EEEvT1_,"axG",@progbits,_ZN7rocprim17ROCPRIM_400000_NS6detail17trampoline_kernelINS0_14default_configENS1_25partition_config_selectorILNS1_17partition_subalgoE9EllbEEZZNS1_14partition_implILS5_9ELb0ES3_jPKlN6thrust23THRUST_200600_302600_NS17counting_iteratorIlNSB_11use_defaultESD_SD_EEPNS0_10empty_typeENS0_5tupleIJPlSF_EEENSH_IJSI_SG_EEENS0_18inequality_wrapperIN6hipcub16HIPCUB_304000_NS8EqualityEEESI_JSF_EEE10hipError_tPvRmT3_T4_T5_T6_T7_T9_mT8_P12ihipStream_tbDpT10_ENKUlT_T0_E_clISt17integral_constantIbLb1EES18_IbLb0EEEEDaS14_S15_EUlS14_E_NS1_11comp_targetILNS1_3genE8ELNS1_11target_archE1030ELNS1_3gpuE2ELNS1_3repE0EEENS1_30default_config_static_selectorELNS0_4arch9wavefront6targetE1EEEvT1_,comdat
	.protected	_ZN7rocprim17ROCPRIM_400000_NS6detail17trampoline_kernelINS0_14default_configENS1_25partition_config_selectorILNS1_17partition_subalgoE9EllbEEZZNS1_14partition_implILS5_9ELb0ES3_jPKlN6thrust23THRUST_200600_302600_NS17counting_iteratorIlNSB_11use_defaultESD_SD_EEPNS0_10empty_typeENS0_5tupleIJPlSF_EEENSH_IJSI_SG_EEENS0_18inequality_wrapperIN6hipcub16HIPCUB_304000_NS8EqualityEEESI_JSF_EEE10hipError_tPvRmT3_T4_T5_T6_T7_T9_mT8_P12ihipStream_tbDpT10_ENKUlT_T0_E_clISt17integral_constantIbLb1EES18_IbLb0EEEEDaS14_S15_EUlS14_E_NS1_11comp_targetILNS1_3genE8ELNS1_11target_archE1030ELNS1_3gpuE2ELNS1_3repE0EEENS1_30default_config_static_selectorELNS0_4arch9wavefront6targetE1EEEvT1_ ; -- Begin function _ZN7rocprim17ROCPRIM_400000_NS6detail17trampoline_kernelINS0_14default_configENS1_25partition_config_selectorILNS1_17partition_subalgoE9EllbEEZZNS1_14partition_implILS5_9ELb0ES3_jPKlN6thrust23THRUST_200600_302600_NS17counting_iteratorIlNSB_11use_defaultESD_SD_EEPNS0_10empty_typeENS0_5tupleIJPlSF_EEENSH_IJSI_SG_EEENS0_18inequality_wrapperIN6hipcub16HIPCUB_304000_NS8EqualityEEESI_JSF_EEE10hipError_tPvRmT3_T4_T5_T6_T7_T9_mT8_P12ihipStream_tbDpT10_ENKUlT_T0_E_clISt17integral_constantIbLb1EES18_IbLb0EEEEDaS14_S15_EUlS14_E_NS1_11comp_targetILNS1_3genE8ELNS1_11target_archE1030ELNS1_3gpuE2ELNS1_3repE0EEENS1_30default_config_static_selectorELNS0_4arch9wavefront6targetE1EEEvT1_
	.globl	_ZN7rocprim17ROCPRIM_400000_NS6detail17trampoline_kernelINS0_14default_configENS1_25partition_config_selectorILNS1_17partition_subalgoE9EllbEEZZNS1_14partition_implILS5_9ELb0ES3_jPKlN6thrust23THRUST_200600_302600_NS17counting_iteratorIlNSB_11use_defaultESD_SD_EEPNS0_10empty_typeENS0_5tupleIJPlSF_EEENSH_IJSI_SG_EEENS0_18inequality_wrapperIN6hipcub16HIPCUB_304000_NS8EqualityEEESI_JSF_EEE10hipError_tPvRmT3_T4_T5_T6_T7_T9_mT8_P12ihipStream_tbDpT10_ENKUlT_T0_E_clISt17integral_constantIbLb1EES18_IbLb0EEEEDaS14_S15_EUlS14_E_NS1_11comp_targetILNS1_3genE8ELNS1_11target_archE1030ELNS1_3gpuE2ELNS1_3repE0EEENS1_30default_config_static_selectorELNS0_4arch9wavefront6targetE1EEEvT1_
	.p2align	8
	.type	_ZN7rocprim17ROCPRIM_400000_NS6detail17trampoline_kernelINS0_14default_configENS1_25partition_config_selectorILNS1_17partition_subalgoE9EllbEEZZNS1_14partition_implILS5_9ELb0ES3_jPKlN6thrust23THRUST_200600_302600_NS17counting_iteratorIlNSB_11use_defaultESD_SD_EEPNS0_10empty_typeENS0_5tupleIJPlSF_EEENSH_IJSI_SG_EEENS0_18inequality_wrapperIN6hipcub16HIPCUB_304000_NS8EqualityEEESI_JSF_EEE10hipError_tPvRmT3_T4_T5_T6_T7_T9_mT8_P12ihipStream_tbDpT10_ENKUlT_T0_E_clISt17integral_constantIbLb1EES18_IbLb0EEEEDaS14_S15_EUlS14_E_NS1_11comp_targetILNS1_3genE8ELNS1_11target_archE1030ELNS1_3gpuE2ELNS1_3repE0EEENS1_30default_config_static_selectorELNS0_4arch9wavefront6targetE1EEEvT1_,@function
_ZN7rocprim17ROCPRIM_400000_NS6detail17trampoline_kernelINS0_14default_configENS1_25partition_config_selectorILNS1_17partition_subalgoE9EllbEEZZNS1_14partition_implILS5_9ELb0ES3_jPKlN6thrust23THRUST_200600_302600_NS17counting_iteratorIlNSB_11use_defaultESD_SD_EEPNS0_10empty_typeENS0_5tupleIJPlSF_EEENSH_IJSI_SG_EEENS0_18inequality_wrapperIN6hipcub16HIPCUB_304000_NS8EqualityEEESI_JSF_EEE10hipError_tPvRmT3_T4_T5_T6_T7_T9_mT8_P12ihipStream_tbDpT10_ENKUlT_T0_E_clISt17integral_constantIbLb1EES18_IbLb0EEEEDaS14_S15_EUlS14_E_NS1_11comp_targetILNS1_3genE8ELNS1_11target_archE1030ELNS1_3gpuE2ELNS1_3repE0EEENS1_30default_config_static_selectorELNS0_4arch9wavefront6targetE1EEEvT1_: ; @_ZN7rocprim17ROCPRIM_400000_NS6detail17trampoline_kernelINS0_14default_configENS1_25partition_config_selectorILNS1_17partition_subalgoE9EllbEEZZNS1_14partition_implILS5_9ELb0ES3_jPKlN6thrust23THRUST_200600_302600_NS17counting_iteratorIlNSB_11use_defaultESD_SD_EEPNS0_10empty_typeENS0_5tupleIJPlSF_EEENSH_IJSI_SG_EEENS0_18inequality_wrapperIN6hipcub16HIPCUB_304000_NS8EqualityEEESI_JSF_EEE10hipError_tPvRmT3_T4_T5_T6_T7_T9_mT8_P12ihipStream_tbDpT10_ENKUlT_T0_E_clISt17integral_constantIbLb1EES18_IbLb0EEEEDaS14_S15_EUlS14_E_NS1_11comp_targetILNS1_3genE8ELNS1_11target_archE1030ELNS1_3gpuE2ELNS1_3repE0EEENS1_30default_config_static_selectorELNS0_4arch9wavefront6targetE1EEEvT1_
; %bb.0:
	.section	.rodata,"a",@progbits
	.p2align	6, 0x0
	.amdhsa_kernel _ZN7rocprim17ROCPRIM_400000_NS6detail17trampoline_kernelINS0_14default_configENS1_25partition_config_selectorILNS1_17partition_subalgoE9EllbEEZZNS1_14partition_implILS5_9ELb0ES3_jPKlN6thrust23THRUST_200600_302600_NS17counting_iteratorIlNSB_11use_defaultESD_SD_EEPNS0_10empty_typeENS0_5tupleIJPlSF_EEENSH_IJSI_SG_EEENS0_18inequality_wrapperIN6hipcub16HIPCUB_304000_NS8EqualityEEESI_JSF_EEE10hipError_tPvRmT3_T4_T5_T6_T7_T9_mT8_P12ihipStream_tbDpT10_ENKUlT_T0_E_clISt17integral_constantIbLb1EES18_IbLb0EEEEDaS14_S15_EUlS14_E_NS1_11comp_targetILNS1_3genE8ELNS1_11target_archE1030ELNS1_3gpuE2ELNS1_3repE0EEENS1_30default_config_static_selectorELNS0_4arch9wavefront6targetE1EEEvT1_
		.amdhsa_group_segment_fixed_size 0
		.amdhsa_private_segment_fixed_size 0
		.amdhsa_kernarg_size 112
		.amdhsa_user_sgpr_count 6
		.amdhsa_user_sgpr_private_segment_buffer 1
		.amdhsa_user_sgpr_dispatch_ptr 0
		.amdhsa_user_sgpr_queue_ptr 0
		.amdhsa_user_sgpr_kernarg_segment_ptr 1
		.amdhsa_user_sgpr_dispatch_id 0
		.amdhsa_user_sgpr_flat_scratch_init 0
		.amdhsa_user_sgpr_kernarg_preload_length 0
		.amdhsa_user_sgpr_kernarg_preload_offset 0
		.amdhsa_user_sgpr_private_segment_size 0
		.amdhsa_uses_dynamic_stack 0
		.amdhsa_system_sgpr_private_segment_wavefront_offset 0
		.amdhsa_system_sgpr_workgroup_id_x 1
		.amdhsa_system_sgpr_workgroup_id_y 0
		.amdhsa_system_sgpr_workgroup_id_z 0
		.amdhsa_system_sgpr_workgroup_info 0
		.amdhsa_system_vgpr_workitem_id 0
		.amdhsa_next_free_vgpr 1
		.amdhsa_next_free_sgpr 0
		.amdhsa_accum_offset 4
		.amdhsa_reserve_vcc 0
		.amdhsa_reserve_flat_scratch 0
		.amdhsa_float_round_mode_32 0
		.amdhsa_float_round_mode_16_64 0
		.amdhsa_float_denorm_mode_32 3
		.amdhsa_float_denorm_mode_16_64 3
		.amdhsa_dx10_clamp 1
		.amdhsa_ieee_mode 1
		.amdhsa_fp16_overflow 0
		.amdhsa_tg_split 0
		.amdhsa_exception_fp_ieee_invalid_op 0
		.amdhsa_exception_fp_denorm_src 0
		.amdhsa_exception_fp_ieee_div_zero 0
		.amdhsa_exception_fp_ieee_overflow 0
		.amdhsa_exception_fp_ieee_underflow 0
		.amdhsa_exception_fp_ieee_inexact 0
		.amdhsa_exception_int_div_zero 0
	.end_amdhsa_kernel
	.section	.text._ZN7rocprim17ROCPRIM_400000_NS6detail17trampoline_kernelINS0_14default_configENS1_25partition_config_selectorILNS1_17partition_subalgoE9EllbEEZZNS1_14partition_implILS5_9ELb0ES3_jPKlN6thrust23THRUST_200600_302600_NS17counting_iteratorIlNSB_11use_defaultESD_SD_EEPNS0_10empty_typeENS0_5tupleIJPlSF_EEENSH_IJSI_SG_EEENS0_18inequality_wrapperIN6hipcub16HIPCUB_304000_NS8EqualityEEESI_JSF_EEE10hipError_tPvRmT3_T4_T5_T6_T7_T9_mT8_P12ihipStream_tbDpT10_ENKUlT_T0_E_clISt17integral_constantIbLb1EES18_IbLb0EEEEDaS14_S15_EUlS14_E_NS1_11comp_targetILNS1_3genE8ELNS1_11target_archE1030ELNS1_3gpuE2ELNS1_3repE0EEENS1_30default_config_static_selectorELNS0_4arch9wavefront6targetE1EEEvT1_,"axG",@progbits,_ZN7rocprim17ROCPRIM_400000_NS6detail17trampoline_kernelINS0_14default_configENS1_25partition_config_selectorILNS1_17partition_subalgoE9EllbEEZZNS1_14partition_implILS5_9ELb0ES3_jPKlN6thrust23THRUST_200600_302600_NS17counting_iteratorIlNSB_11use_defaultESD_SD_EEPNS0_10empty_typeENS0_5tupleIJPlSF_EEENSH_IJSI_SG_EEENS0_18inequality_wrapperIN6hipcub16HIPCUB_304000_NS8EqualityEEESI_JSF_EEE10hipError_tPvRmT3_T4_T5_T6_T7_T9_mT8_P12ihipStream_tbDpT10_ENKUlT_T0_E_clISt17integral_constantIbLb1EES18_IbLb0EEEEDaS14_S15_EUlS14_E_NS1_11comp_targetILNS1_3genE8ELNS1_11target_archE1030ELNS1_3gpuE2ELNS1_3repE0EEENS1_30default_config_static_selectorELNS0_4arch9wavefront6targetE1EEEvT1_,comdat
.Lfunc_end67:
	.size	_ZN7rocprim17ROCPRIM_400000_NS6detail17trampoline_kernelINS0_14default_configENS1_25partition_config_selectorILNS1_17partition_subalgoE9EllbEEZZNS1_14partition_implILS5_9ELb0ES3_jPKlN6thrust23THRUST_200600_302600_NS17counting_iteratorIlNSB_11use_defaultESD_SD_EEPNS0_10empty_typeENS0_5tupleIJPlSF_EEENSH_IJSI_SG_EEENS0_18inequality_wrapperIN6hipcub16HIPCUB_304000_NS8EqualityEEESI_JSF_EEE10hipError_tPvRmT3_T4_T5_T6_T7_T9_mT8_P12ihipStream_tbDpT10_ENKUlT_T0_E_clISt17integral_constantIbLb1EES18_IbLb0EEEEDaS14_S15_EUlS14_E_NS1_11comp_targetILNS1_3genE8ELNS1_11target_archE1030ELNS1_3gpuE2ELNS1_3repE0EEENS1_30default_config_static_selectorELNS0_4arch9wavefront6targetE1EEEvT1_, .Lfunc_end67-_ZN7rocprim17ROCPRIM_400000_NS6detail17trampoline_kernelINS0_14default_configENS1_25partition_config_selectorILNS1_17partition_subalgoE9EllbEEZZNS1_14partition_implILS5_9ELb0ES3_jPKlN6thrust23THRUST_200600_302600_NS17counting_iteratorIlNSB_11use_defaultESD_SD_EEPNS0_10empty_typeENS0_5tupleIJPlSF_EEENSH_IJSI_SG_EEENS0_18inequality_wrapperIN6hipcub16HIPCUB_304000_NS8EqualityEEESI_JSF_EEE10hipError_tPvRmT3_T4_T5_T6_T7_T9_mT8_P12ihipStream_tbDpT10_ENKUlT_T0_E_clISt17integral_constantIbLb1EES18_IbLb0EEEEDaS14_S15_EUlS14_E_NS1_11comp_targetILNS1_3genE8ELNS1_11target_archE1030ELNS1_3gpuE2ELNS1_3repE0EEENS1_30default_config_static_selectorELNS0_4arch9wavefront6targetE1EEEvT1_
                                        ; -- End function
	.section	.AMDGPU.csdata,"",@progbits
; Kernel info:
; codeLenInByte = 0
; NumSgprs: 4
; NumVgprs: 0
; NumAgprs: 0
; TotalNumVgprs: 0
; ScratchSize: 0
; MemoryBound: 0
; FloatMode: 240
; IeeeMode: 1
; LDSByteSize: 0 bytes/workgroup (compile time only)
; SGPRBlocks: 0
; VGPRBlocks: 0
; NumSGPRsForWavesPerEU: 4
; NumVGPRsForWavesPerEU: 1
; AccumOffset: 4
; Occupancy: 8
; WaveLimiterHint : 0
; COMPUTE_PGM_RSRC2:SCRATCH_EN: 0
; COMPUTE_PGM_RSRC2:USER_SGPR: 6
; COMPUTE_PGM_RSRC2:TRAP_HANDLER: 0
; COMPUTE_PGM_RSRC2:TGID_X_EN: 1
; COMPUTE_PGM_RSRC2:TGID_Y_EN: 0
; COMPUTE_PGM_RSRC2:TGID_Z_EN: 0
; COMPUTE_PGM_RSRC2:TIDIG_COMP_CNT: 0
; COMPUTE_PGM_RSRC3_GFX90A:ACCUM_OFFSET: 0
; COMPUTE_PGM_RSRC3_GFX90A:TG_SPLIT: 0
	.section	.text._ZN7rocprim17ROCPRIM_400000_NS6detail17trampoline_kernelINS0_14default_configENS1_25partition_config_selectorILNS1_17partition_subalgoE9EllbEEZZNS1_14partition_implILS5_9ELb0ES3_jPKlN6thrust23THRUST_200600_302600_NS17counting_iteratorIlNSB_11use_defaultESD_SD_EEPNS0_10empty_typeENS0_5tupleIJPlSF_EEENSH_IJSI_SG_EEENS0_18inequality_wrapperIN6hipcub16HIPCUB_304000_NS8EqualityEEESI_JSF_EEE10hipError_tPvRmT3_T4_T5_T6_T7_T9_mT8_P12ihipStream_tbDpT10_ENKUlT_T0_E_clISt17integral_constantIbLb0EES18_IbLb1EEEEDaS14_S15_EUlS14_E_NS1_11comp_targetILNS1_3genE0ELNS1_11target_archE4294967295ELNS1_3gpuE0ELNS1_3repE0EEENS1_30default_config_static_selectorELNS0_4arch9wavefront6targetE1EEEvT1_,"axG",@progbits,_ZN7rocprim17ROCPRIM_400000_NS6detail17trampoline_kernelINS0_14default_configENS1_25partition_config_selectorILNS1_17partition_subalgoE9EllbEEZZNS1_14partition_implILS5_9ELb0ES3_jPKlN6thrust23THRUST_200600_302600_NS17counting_iteratorIlNSB_11use_defaultESD_SD_EEPNS0_10empty_typeENS0_5tupleIJPlSF_EEENSH_IJSI_SG_EEENS0_18inequality_wrapperIN6hipcub16HIPCUB_304000_NS8EqualityEEESI_JSF_EEE10hipError_tPvRmT3_T4_T5_T6_T7_T9_mT8_P12ihipStream_tbDpT10_ENKUlT_T0_E_clISt17integral_constantIbLb0EES18_IbLb1EEEEDaS14_S15_EUlS14_E_NS1_11comp_targetILNS1_3genE0ELNS1_11target_archE4294967295ELNS1_3gpuE0ELNS1_3repE0EEENS1_30default_config_static_selectorELNS0_4arch9wavefront6targetE1EEEvT1_,comdat
	.protected	_ZN7rocprim17ROCPRIM_400000_NS6detail17trampoline_kernelINS0_14default_configENS1_25partition_config_selectorILNS1_17partition_subalgoE9EllbEEZZNS1_14partition_implILS5_9ELb0ES3_jPKlN6thrust23THRUST_200600_302600_NS17counting_iteratorIlNSB_11use_defaultESD_SD_EEPNS0_10empty_typeENS0_5tupleIJPlSF_EEENSH_IJSI_SG_EEENS0_18inequality_wrapperIN6hipcub16HIPCUB_304000_NS8EqualityEEESI_JSF_EEE10hipError_tPvRmT3_T4_T5_T6_T7_T9_mT8_P12ihipStream_tbDpT10_ENKUlT_T0_E_clISt17integral_constantIbLb0EES18_IbLb1EEEEDaS14_S15_EUlS14_E_NS1_11comp_targetILNS1_3genE0ELNS1_11target_archE4294967295ELNS1_3gpuE0ELNS1_3repE0EEENS1_30default_config_static_selectorELNS0_4arch9wavefront6targetE1EEEvT1_ ; -- Begin function _ZN7rocprim17ROCPRIM_400000_NS6detail17trampoline_kernelINS0_14default_configENS1_25partition_config_selectorILNS1_17partition_subalgoE9EllbEEZZNS1_14partition_implILS5_9ELb0ES3_jPKlN6thrust23THRUST_200600_302600_NS17counting_iteratorIlNSB_11use_defaultESD_SD_EEPNS0_10empty_typeENS0_5tupleIJPlSF_EEENSH_IJSI_SG_EEENS0_18inequality_wrapperIN6hipcub16HIPCUB_304000_NS8EqualityEEESI_JSF_EEE10hipError_tPvRmT3_T4_T5_T6_T7_T9_mT8_P12ihipStream_tbDpT10_ENKUlT_T0_E_clISt17integral_constantIbLb0EES18_IbLb1EEEEDaS14_S15_EUlS14_E_NS1_11comp_targetILNS1_3genE0ELNS1_11target_archE4294967295ELNS1_3gpuE0ELNS1_3repE0EEENS1_30default_config_static_selectorELNS0_4arch9wavefront6targetE1EEEvT1_
	.globl	_ZN7rocprim17ROCPRIM_400000_NS6detail17trampoline_kernelINS0_14default_configENS1_25partition_config_selectorILNS1_17partition_subalgoE9EllbEEZZNS1_14partition_implILS5_9ELb0ES3_jPKlN6thrust23THRUST_200600_302600_NS17counting_iteratorIlNSB_11use_defaultESD_SD_EEPNS0_10empty_typeENS0_5tupleIJPlSF_EEENSH_IJSI_SG_EEENS0_18inequality_wrapperIN6hipcub16HIPCUB_304000_NS8EqualityEEESI_JSF_EEE10hipError_tPvRmT3_T4_T5_T6_T7_T9_mT8_P12ihipStream_tbDpT10_ENKUlT_T0_E_clISt17integral_constantIbLb0EES18_IbLb1EEEEDaS14_S15_EUlS14_E_NS1_11comp_targetILNS1_3genE0ELNS1_11target_archE4294967295ELNS1_3gpuE0ELNS1_3repE0EEENS1_30default_config_static_selectorELNS0_4arch9wavefront6targetE1EEEvT1_
	.p2align	8
	.type	_ZN7rocprim17ROCPRIM_400000_NS6detail17trampoline_kernelINS0_14default_configENS1_25partition_config_selectorILNS1_17partition_subalgoE9EllbEEZZNS1_14partition_implILS5_9ELb0ES3_jPKlN6thrust23THRUST_200600_302600_NS17counting_iteratorIlNSB_11use_defaultESD_SD_EEPNS0_10empty_typeENS0_5tupleIJPlSF_EEENSH_IJSI_SG_EEENS0_18inequality_wrapperIN6hipcub16HIPCUB_304000_NS8EqualityEEESI_JSF_EEE10hipError_tPvRmT3_T4_T5_T6_T7_T9_mT8_P12ihipStream_tbDpT10_ENKUlT_T0_E_clISt17integral_constantIbLb0EES18_IbLb1EEEEDaS14_S15_EUlS14_E_NS1_11comp_targetILNS1_3genE0ELNS1_11target_archE4294967295ELNS1_3gpuE0ELNS1_3repE0EEENS1_30default_config_static_selectorELNS0_4arch9wavefront6targetE1EEEvT1_,@function
_ZN7rocprim17ROCPRIM_400000_NS6detail17trampoline_kernelINS0_14default_configENS1_25partition_config_selectorILNS1_17partition_subalgoE9EllbEEZZNS1_14partition_implILS5_9ELb0ES3_jPKlN6thrust23THRUST_200600_302600_NS17counting_iteratorIlNSB_11use_defaultESD_SD_EEPNS0_10empty_typeENS0_5tupleIJPlSF_EEENSH_IJSI_SG_EEENS0_18inequality_wrapperIN6hipcub16HIPCUB_304000_NS8EqualityEEESI_JSF_EEE10hipError_tPvRmT3_T4_T5_T6_T7_T9_mT8_P12ihipStream_tbDpT10_ENKUlT_T0_E_clISt17integral_constantIbLb0EES18_IbLb1EEEEDaS14_S15_EUlS14_E_NS1_11comp_targetILNS1_3genE0ELNS1_11target_archE4294967295ELNS1_3gpuE0ELNS1_3repE0EEENS1_30default_config_static_selectorELNS0_4arch9wavefront6targetE1EEEvT1_: ; @_ZN7rocprim17ROCPRIM_400000_NS6detail17trampoline_kernelINS0_14default_configENS1_25partition_config_selectorILNS1_17partition_subalgoE9EllbEEZZNS1_14partition_implILS5_9ELb0ES3_jPKlN6thrust23THRUST_200600_302600_NS17counting_iteratorIlNSB_11use_defaultESD_SD_EEPNS0_10empty_typeENS0_5tupleIJPlSF_EEENSH_IJSI_SG_EEENS0_18inequality_wrapperIN6hipcub16HIPCUB_304000_NS8EqualityEEESI_JSF_EEE10hipError_tPvRmT3_T4_T5_T6_T7_T9_mT8_P12ihipStream_tbDpT10_ENKUlT_T0_E_clISt17integral_constantIbLb0EES18_IbLb1EEEEDaS14_S15_EUlS14_E_NS1_11comp_targetILNS1_3genE0ELNS1_11target_archE4294967295ELNS1_3gpuE0ELNS1_3repE0EEENS1_30default_config_static_selectorELNS0_4arch9wavefront6targetE1EEEvT1_
; %bb.0:
	.section	.rodata,"a",@progbits
	.p2align	6, 0x0
	.amdhsa_kernel _ZN7rocprim17ROCPRIM_400000_NS6detail17trampoline_kernelINS0_14default_configENS1_25partition_config_selectorILNS1_17partition_subalgoE9EllbEEZZNS1_14partition_implILS5_9ELb0ES3_jPKlN6thrust23THRUST_200600_302600_NS17counting_iteratorIlNSB_11use_defaultESD_SD_EEPNS0_10empty_typeENS0_5tupleIJPlSF_EEENSH_IJSI_SG_EEENS0_18inequality_wrapperIN6hipcub16HIPCUB_304000_NS8EqualityEEESI_JSF_EEE10hipError_tPvRmT3_T4_T5_T6_T7_T9_mT8_P12ihipStream_tbDpT10_ENKUlT_T0_E_clISt17integral_constantIbLb0EES18_IbLb1EEEEDaS14_S15_EUlS14_E_NS1_11comp_targetILNS1_3genE0ELNS1_11target_archE4294967295ELNS1_3gpuE0ELNS1_3repE0EEENS1_30default_config_static_selectorELNS0_4arch9wavefront6targetE1EEEvT1_
		.amdhsa_group_segment_fixed_size 0
		.amdhsa_private_segment_fixed_size 0
		.amdhsa_kernarg_size 128
		.amdhsa_user_sgpr_count 6
		.amdhsa_user_sgpr_private_segment_buffer 1
		.amdhsa_user_sgpr_dispatch_ptr 0
		.amdhsa_user_sgpr_queue_ptr 0
		.amdhsa_user_sgpr_kernarg_segment_ptr 1
		.amdhsa_user_sgpr_dispatch_id 0
		.amdhsa_user_sgpr_flat_scratch_init 0
		.amdhsa_user_sgpr_kernarg_preload_length 0
		.amdhsa_user_sgpr_kernarg_preload_offset 0
		.amdhsa_user_sgpr_private_segment_size 0
		.amdhsa_uses_dynamic_stack 0
		.amdhsa_system_sgpr_private_segment_wavefront_offset 0
		.amdhsa_system_sgpr_workgroup_id_x 1
		.amdhsa_system_sgpr_workgroup_id_y 0
		.amdhsa_system_sgpr_workgroup_id_z 0
		.amdhsa_system_sgpr_workgroup_info 0
		.amdhsa_system_vgpr_workitem_id 0
		.amdhsa_next_free_vgpr 1
		.amdhsa_next_free_sgpr 0
		.amdhsa_accum_offset 4
		.amdhsa_reserve_vcc 0
		.amdhsa_reserve_flat_scratch 0
		.amdhsa_float_round_mode_32 0
		.amdhsa_float_round_mode_16_64 0
		.amdhsa_float_denorm_mode_32 3
		.amdhsa_float_denorm_mode_16_64 3
		.amdhsa_dx10_clamp 1
		.amdhsa_ieee_mode 1
		.amdhsa_fp16_overflow 0
		.amdhsa_tg_split 0
		.amdhsa_exception_fp_ieee_invalid_op 0
		.amdhsa_exception_fp_denorm_src 0
		.amdhsa_exception_fp_ieee_div_zero 0
		.amdhsa_exception_fp_ieee_overflow 0
		.amdhsa_exception_fp_ieee_underflow 0
		.amdhsa_exception_fp_ieee_inexact 0
		.amdhsa_exception_int_div_zero 0
	.end_amdhsa_kernel
	.section	.text._ZN7rocprim17ROCPRIM_400000_NS6detail17trampoline_kernelINS0_14default_configENS1_25partition_config_selectorILNS1_17partition_subalgoE9EllbEEZZNS1_14partition_implILS5_9ELb0ES3_jPKlN6thrust23THRUST_200600_302600_NS17counting_iteratorIlNSB_11use_defaultESD_SD_EEPNS0_10empty_typeENS0_5tupleIJPlSF_EEENSH_IJSI_SG_EEENS0_18inequality_wrapperIN6hipcub16HIPCUB_304000_NS8EqualityEEESI_JSF_EEE10hipError_tPvRmT3_T4_T5_T6_T7_T9_mT8_P12ihipStream_tbDpT10_ENKUlT_T0_E_clISt17integral_constantIbLb0EES18_IbLb1EEEEDaS14_S15_EUlS14_E_NS1_11comp_targetILNS1_3genE0ELNS1_11target_archE4294967295ELNS1_3gpuE0ELNS1_3repE0EEENS1_30default_config_static_selectorELNS0_4arch9wavefront6targetE1EEEvT1_,"axG",@progbits,_ZN7rocprim17ROCPRIM_400000_NS6detail17trampoline_kernelINS0_14default_configENS1_25partition_config_selectorILNS1_17partition_subalgoE9EllbEEZZNS1_14partition_implILS5_9ELb0ES3_jPKlN6thrust23THRUST_200600_302600_NS17counting_iteratorIlNSB_11use_defaultESD_SD_EEPNS0_10empty_typeENS0_5tupleIJPlSF_EEENSH_IJSI_SG_EEENS0_18inequality_wrapperIN6hipcub16HIPCUB_304000_NS8EqualityEEESI_JSF_EEE10hipError_tPvRmT3_T4_T5_T6_T7_T9_mT8_P12ihipStream_tbDpT10_ENKUlT_T0_E_clISt17integral_constantIbLb0EES18_IbLb1EEEEDaS14_S15_EUlS14_E_NS1_11comp_targetILNS1_3genE0ELNS1_11target_archE4294967295ELNS1_3gpuE0ELNS1_3repE0EEENS1_30default_config_static_selectorELNS0_4arch9wavefront6targetE1EEEvT1_,comdat
.Lfunc_end68:
	.size	_ZN7rocprim17ROCPRIM_400000_NS6detail17trampoline_kernelINS0_14default_configENS1_25partition_config_selectorILNS1_17partition_subalgoE9EllbEEZZNS1_14partition_implILS5_9ELb0ES3_jPKlN6thrust23THRUST_200600_302600_NS17counting_iteratorIlNSB_11use_defaultESD_SD_EEPNS0_10empty_typeENS0_5tupleIJPlSF_EEENSH_IJSI_SG_EEENS0_18inequality_wrapperIN6hipcub16HIPCUB_304000_NS8EqualityEEESI_JSF_EEE10hipError_tPvRmT3_T4_T5_T6_T7_T9_mT8_P12ihipStream_tbDpT10_ENKUlT_T0_E_clISt17integral_constantIbLb0EES18_IbLb1EEEEDaS14_S15_EUlS14_E_NS1_11comp_targetILNS1_3genE0ELNS1_11target_archE4294967295ELNS1_3gpuE0ELNS1_3repE0EEENS1_30default_config_static_selectorELNS0_4arch9wavefront6targetE1EEEvT1_, .Lfunc_end68-_ZN7rocprim17ROCPRIM_400000_NS6detail17trampoline_kernelINS0_14default_configENS1_25partition_config_selectorILNS1_17partition_subalgoE9EllbEEZZNS1_14partition_implILS5_9ELb0ES3_jPKlN6thrust23THRUST_200600_302600_NS17counting_iteratorIlNSB_11use_defaultESD_SD_EEPNS0_10empty_typeENS0_5tupleIJPlSF_EEENSH_IJSI_SG_EEENS0_18inequality_wrapperIN6hipcub16HIPCUB_304000_NS8EqualityEEESI_JSF_EEE10hipError_tPvRmT3_T4_T5_T6_T7_T9_mT8_P12ihipStream_tbDpT10_ENKUlT_T0_E_clISt17integral_constantIbLb0EES18_IbLb1EEEEDaS14_S15_EUlS14_E_NS1_11comp_targetILNS1_3genE0ELNS1_11target_archE4294967295ELNS1_3gpuE0ELNS1_3repE0EEENS1_30default_config_static_selectorELNS0_4arch9wavefront6targetE1EEEvT1_
                                        ; -- End function
	.section	.AMDGPU.csdata,"",@progbits
; Kernel info:
; codeLenInByte = 0
; NumSgprs: 4
; NumVgprs: 0
; NumAgprs: 0
; TotalNumVgprs: 0
; ScratchSize: 0
; MemoryBound: 0
; FloatMode: 240
; IeeeMode: 1
; LDSByteSize: 0 bytes/workgroup (compile time only)
; SGPRBlocks: 0
; VGPRBlocks: 0
; NumSGPRsForWavesPerEU: 4
; NumVGPRsForWavesPerEU: 1
; AccumOffset: 4
; Occupancy: 8
; WaveLimiterHint : 0
; COMPUTE_PGM_RSRC2:SCRATCH_EN: 0
; COMPUTE_PGM_RSRC2:USER_SGPR: 6
; COMPUTE_PGM_RSRC2:TRAP_HANDLER: 0
; COMPUTE_PGM_RSRC2:TGID_X_EN: 1
; COMPUTE_PGM_RSRC2:TGID_Y_EN: 0
; COMPUTE_PGM_RSRC2:TGID_Z_EN: 0
; COMPUTE_PGM_RSRC2:TIDIG_COMP_CNT: 0
; COMPUTE_PGM_RSRC3_GFX90A:ACCUM_OFFSET: 0
; COMPUTE_PGM_RSRC3_GFX90A:TG_SPLIT: 0
	.section	.text._ZN7rocprim17ROCPRIM_400000_NS6detail17trampoline_kernelINS0_14default_configENS1_25partition_config_selectorILNS1_17partition_subalgoE9EllbEEZZNS1_14partition_implILS5_9ELb0ES3_jPKlN6thrust23THRUST_200600_302600_NS17counting_iteratorIlNSB_11use_defaultESD_SD_EEPNS0_10empty_typeENS0_5tupleIJPlSF_EEENSH_IJSI_SG_EEENS0_18inequality_wrapperIN6hipcub16HIPCUB_304000_NS8EqualityEEESI_JSF_EEE10hipError_tPvRmT3_T4_T5_T6_T7_T9_mT8_P12ihipStream_tbDpT10_ENKUlT_T0_E_clISt17integral_constantIbLb0EES18_IbLb1EEEEDaS14_S15_EUlS14_E_NS1_11comp_targetILNS1_3genE5ELNS1_11target_archE942ELNS1_3gpuE9ELNS1_3repE0EEENS1_30default_config_static_selectorELNS0_4arch9wavefront6targetE1EEEvT1_,"axG",@progbits,_ZN7rocprim17ROCPRIM_400000_NS6detail17trampoline_kernelINS0_14default_configENS1_25partition_config_selectorILNS1_17partition_subalgoE9EllbEEZZNS1_14partition_implILS5_9ELb0ES3_jPKlN6thrust23THRUST_200600_302600_NS17counting_iteratorIlNSB_11use_defaultESD_SD_EEPNS0_10empty_typeENS0_5tupleIJPlSF_EEENSH_IJSI_SG_EEENS0_18inequality_wrapperIN6hipcub16HIPCUB_304000_NS8EqualityEEESI_JSF_EEE10hipError_tPvRmT3_T4_T5_T6_T7_T9_mT8_P12ihipStream_tbDpT10_ENKUlT_T0_E_clISt17integral_constantIbLb0EES18_IbLb1EEEEDaS14_S15_EUlS14_E_NS1_11comp_targetILNS1_3genE5ELNS1_11target_archE942ELNS1_3gpuE9ELNS1_3repE0EEENS1_30default_config_static_selectorELNS0_4arch9wavefront6targetE1EEEvT1_,comdat
	.protected	_ZN7rocprim17ROCPRIM_400000_NS6detail17trampoline_kernelINS0_14default_configENS1_25partition_config_selectorILNS1_17partition_subalgoE9EllbEEZZNS1_14partition_implILS5_9ELb0ES3_jPKlN6thrust23THRUST_200600_302600_NS17counting_iteratorIlNSB_11use_defaultESD_SD_EEPNS0_10empty_typeENS0_5tupleIJPlSF_EEENSH_IJSI_SG_EEENS0_18inequality_wrapperIN6hipcub16HIPCUB_304000_NS8EqualityEEESI_JSF_EEE10hipError_tPvRmT3_T4_T5_T6_T7_T9_mT8_P12ihipStream_tbDpT10_ENKUlT_T0_E_clISt17integral_constantIbLb0EES18_IbLb1EEEEDaS14_S15_EUlS14_E_NS1_11comp_targetILNS1_3genE5ELNS1_11target_archE942ELNS1_3gpuE9ELNS1_3repE0EEENS1_30default_config_static_selectorELNS0_4arch9wavefront6targetE1EEEvT1_ ; -- Begin function _ZN7rocprim17ROCPRIM_400000_NS6detail17trampoline_kernelINS0_14default_configENS1_25partition_config_selectorILNS1_17partition_subalgoE9EllbEEZZNS1_14partition_implILS5_9ELb0ES3_jPKlN6thrust23THRUST_200600_302600_NS17counting_iteratorIlNSB_11use_defaultESD_SD_EEPNS0_10empty_typeENS0_5tupleIJPlSF_EEENSH_IJSI_SG_EEENS0_18inequality_wrapperIN6hipcub16HIPCUB_304000_NS8EqualityEEESI_JSF_EEE10hipError_tPvRmT3_T4_T5_T6_T7_T9_mT8_P12ihipStream_tbDpT10_ENKUlT_T0_E_clISt17integral_constantIbLb0EES18_IbLb1EEEEDaS14_S15_EUlS14_E_NS1_11comp_targetILNS1_3genE5ELNS1_11target_archE942ELNS1_3gpuE9ELNS1_3repE0EEENS1_30default_config_static_selectorELNS0_4arch9wavefront6targetE1EEEvT1_
	.globl	_ZN7rocprim17ROCPRIM_400000_NS6detail17trampoline_kernelINS0_14default_configENS1_25partition_config_selectorILNS1_17partition_subalgoE9EllbEEZZNS1_14partition_implILS5_9ELb0ES3_jPKlN6thrust23THRUST_200600_302600_NS17counting_iteratorIlNSB_11use_defaultESD_SD_EEPNS0_10empty_typeENS0_5tupleIJPlSF_EEENSH_IJSI_SG_EEENS0_18inequality_wrapperIN6hipcub16HIPCUB_304000_NS8EqualityEEESI_JSF_EEE10hipError_tPvRmT3_T4_T5_T6_T7_T9_mT8_P12ihipStream_tbDpT10_ENKUlT_T0_E_clISt17integral_constantIbLb0EES18_IbLb1EEEEDaS14_S15_EUlS14_E_NS1_11comp_targetILNS1_3genE5ELNS1_11target_archE942ELNS1_3gpuE9ELNS1_3repE0EEENS1_30default_config_static_selectorELNS0_4arch9wavefront6targetE1EEEvT1_
	.p2align	8
	.type	_ZN7rocprim17ROCPRIM_400000_NS6detail17trampoline_kernelINS0_14default_configENS1_25partition_config_selectorILNS1_17partition_subalgoE9EllbEEZZNS1_14partition_implILS5_9ELb0ES3_jPKlN6thrust23THRUST_200600_302600_NS17counting_iteratorIlNSB_11use_defaultESD_SD_EEPNS0_10empty_typeENS0_5tupleIJPlSF_EEENSH_IJSI_SG_EEENS0_18inequality_wrapperIN6hipcub16HIPCUB_304000_NS8EqualityEEESI_JSF_EEE10hipError_tPvRmT3_T4_T5_T6_T7_T9_mT8_P12ihipStream_tbDpT10_ENKUlT_T0_E_clISt17integral_constantIbLb0EES18_IbLb1EEEEDaS14_S15_EUlS14_E_NS1_11comp_targetILNS1_3genE5ELNS1_11target_archE942ELNS1_3gpuE9ELNS1_3repE0EEENS1_30default_config_static_selectorELNS0_4arch9wavefront6targetE1EEEvT1_,@function
_ZN7rocprim17ROCPRIM_400000_NS6detail17trampoline_kernelINS0_14default_configENS1_25partition_config_selectorILNS1_17partition_subalgoE9EllbEEZZNS1_14partition_implILS5_9ELb0ES3_jPKlN6thrust23THRUST_200600_302600_NS17counting_iteratorIlNSB_11use_defaultESD_SD_EEPNS0_10empty_typeENS0_5tupleIJPlSF_EEENSH_IJSI_SG_EEENS0_18inequality_wrapperIN6hipcub16HIPCUB_304000_NS8EqualityEEESI_JSF_EEE10hipError_tPvRmT3_T4_T5_T6_T7_T9_mT8_P12ihipStream_tbDpT10_ENKUlT_T0_E_clISt17integral_constantIbLb0EES18_IbLb1EEEEDaS14_S15_EUlS14_E_NS1_11comp_targetILNS1_3genE5ELNS1_11target_archE942ELNS1_3gpuE9ELNS1_3repE0EEENS1_30default_config_static_selectorELNS0_4arch9wavefront6targetE1EEEvT1_: ; @_ZN7rocprim17ROCPRIM_400000_NS6detail17trampoline_kernelINS0_14default_configENS1_25partition_config_selectorILNS1_17partition_subalgoE9EllbEEZZNS1_14partition_implILS5_9ELb0ES3_jPKlN6thrust23THRUST_200600_302600_NS17counting_iteratorIlNSB_11use_defaultESD_SD_EEPNS0_10empty_typeENS0_5tupleIJPlSF_EEENSH_IJSI_SG_EEENS0_18inequality_wrapperIN6hipcub16HIPCUB_304000_NS8EqualityEEESI_JSF_EEE10hipError_tPvRmT3_T4_T5_T6_T7_T9_mT8_P12ihipStream_tbDpT10_ENKUlT_T0_E_clISt17integral_constantIbLb0EES18_IbLb1EEEEDaS14_S15_EUlS14_E_NS1_11comp_targetILNS1_3genE5ELNS1_11target_archE942ELNS1_3gpuE9ELNS1_3repE0EEENS1_30default_config_static_selectorELNS0_4arch9wavefront6targetE1EEEvT1_
; %bb.0:
	.section	.rodata,"a",@progbits
	.p2align	6, 0x0
	.amdhsa_kernel _ZN7rocprim17ROCPRIM_400000_NS6detail17trampoline_kernelINS0_14default_configENS1_25partition_config_selectorILNS1_17partition_subalgoE9EllbEEZZNS1_14partition_implILS5_9ELb0ES3_jPKlN6thrust23THRUST_200600_302600_NS17counting_iteratorIlNSB_11use_defaultESD_SD_EEPNS0_10empty_typeENS0_5tupleIJPlSF_EEENSH_IJSI_SG_EEENS0_18inequality_wrapperIN6hipcub16HIPCUB_304000_NS8EqualityEEESI_JSF_EEE10hipError_tPvRmT3_T4_T5_T6_T7_T9_mT8_P12ihipStream_tbDpT10_ENKUlT_T0_E_clISt17integral_constantIbLb0EES18_IbLb1EEEEDaS14_S15_EUlS14_E_NS1_11comp_targetILNS1_3genE5ELNS1_11target_archE942ELNS1_3gpuE9ELNS1_3repE0EEENS1_30default_config_static_selectorELNS0_4arch9wavefront6targetE1EEEvT1_
		.amdhsa_group_segment_fixed_size 0
		.amdhsa_private_segment_fixed_size 0
		.amdhsa_kernarg_size 128
		.amdhsa_user_sgpr_count 6
		.amdhsa_user_sgpr_private_segment_buffer 1
		.amdhsa_user_sgpr_dispatch_ptr 0
		.amdhsa_user_sgpr_queue_ptr 0
		.amdhsa_user_sgpr_kernarg_segment_ptr 1
		.amdhsa_user_sgpr_dispatch_id 0
		.amdhsa_user_sgpr_flat_scratch_init 0
		.amdhsa_user_sgpr_kernarg_preload_length 0
		.amdhsa_user_sgpr_kernarg_preload_offset 0
		.amdhsa_user_sgpr_private_segment_size 0
		.amdhsa_uses_dynamic_stack 0
		.amdhsa_system_sgpr_private_segment_wavefront_offset 0
		.amdhsa_system_sgpr_workgroup_id_x 1
		.amdhsa_system_sgpr_workgroup_id_y 0
		.amdhsa_system_sgpr_workgroup_id_z 0
		.amdhsa_system_sgpr_workgroup_info 0
		.amdhsa_system_vgpr_workitem_id 0
		.amdhsa_next_free_vgpr 1
		.amdhsa_next_free_sgpr 0
		.amdhsa_accum_offset 4
		.amdhsa_reserve_vcc 0
		.amdhsa_reserve_flat_scratch 0
		.amdhsa_float_round_mode_32 0
		.amdhsa_float_round_mode_16_64 0
		.amdhsa_float_denorm_mode_32 3
		.amdhsa_float_denorm_mode_16_64 3
		.amdhsa_dx10_clamp 1
		.amdhsa_ieee_mode 1
		.amdhsa_fp16_overflow 0
		.amdhsa_tg_split 0
		.amdhsa_exception_fp_ieee_invalid_op 0
		.amdhsa_exception_fp_denorm_src 0
		.amdhsa_exception_fp_ieee_div_zero 0
		.amdhsa_exception_fp_ieee_overflow 0
		.amdhsa_exception_fp_ieee_underflow 0
		.amdhsa_exception_fp_ieee_inexact 0
		.amdhsa_exception_int_div_zero 0
	.end_amdhsa_kernel
	.section	.text._ZN7rocprim17ROCPRIM_400000_NS6detail17trampoline_kernelINS0_14default_configENS1_25partition_config_selectorILNS1_17partition_subalgoE9EllbEEZZNS1_14partition_implILS5_9ELb0ES3_jPKlN6thrust23THRUST_200600_302600_NS17counting_iteratorIlNSB_11use_defaultESD_SD_EEPNS0_10empty_typeENS0_5tupleIJPlSF_EEENSH_IJSI_SG_EEENS0_18inequality_wrapperIN6hipcub16HIPCUB_304000_NS8EqualityEEESI_JSF_EEE10hipError_tPvRmT3_T4_T5_T6_T7_T9_mT8_P12ihipStream_tbDpT10_ENKUlT_T0_E_clISt17integral_constantIbLb0EES18_IbLb1EEEEDaS14_S15_EUlS14_E_NS1_11comp_targetILNS1_3genE5ELNS1_11target_archE942ELNS1_3gpuE9ELNS1_3repE0EEENS1_30default_config_static_selectorELNS0_4arch9wavefront6targetE1EEEvT1_,"axG",@progbits,_ZN7rocprim17ROCPRIM_400000_NS6detail17trampoline_kernelINS0_14default_configENS1_25partition_config_selectorILNS1_17partition_subalgoE9EllbEEZZNS1_14partition_implILS5_9ELb0ES3_jPKlN6thrust23THRUST_200600_302600_NS17counting_iteratorIlNSB_11use_defaultESD_SD_EEPNS0_10empty_typeENS0_5tupleIJPlSF_EEENSH_IJSI_SG_EEENS0_18inequality_wrapperIN6hipcub16HIPCUB_304000_NS8EqualityEEESI_JSF_EEE10hipError_tPvRmT3_T4_T5_T6_T7_T9_mT8_P12ihipStream_tbDpT10_ENKUlT_T0_E_clISt17integral_constantIbLb0EES18_IbLb1EEEEDaS14_S15_EUlS14_E_NS1_11comp_targetILNS1_3genE5ELNS1_11target_archE942ELNS1_3gpuE9ELNS1_3repE0EEENS1_30default_config_static_selectorELNS0_4arch9wavefront6targetE1EEEvT1_,comdat
.Lfunc_end69:
	.size	_ZN7rocprim17ROCPRIM_400000_NS6detail17trampoline_kernelINS0_14default_configENS1_25partition_config_selectorILNS1_17partition_subalgoE9EllbEEZZNS1_14partition_implILS5_9ELb0ES3_jPKlN6thrust23THRUST_200600_302600_NS17counting_iteratorIlNSB_11use_defaultESD_SD_EEPNS0_10empty_typeENS0_5tupleIJPlSF_EEENSH_IJSI_SG_EEENS0_18inequality_wrapperIN6hipcub16HIPCUB_304000_NS8EqualityEEESI_JSF_EEE10hipError_tPvRmT3_T4_T5_T6_T7_T9_mT8_P12ihipStream_tbDpT10_ENKUlT_T0_E_clISt17integral_constantIbLb0EES18_IbLb1EEEEDaS14_S15_EUlS14_E_NS1_11comp_targetILNS1_3genE5ELNS1_11target_archE942ELNS1_3gpuE9ELNS1_3repE0EEENS1_30default_config_static_selectorELNS0_4arch9wavefront6targetE1EEEvT1_, .Lfunc_end69-_ZN7rocprim17ROCPRIM_400000_NS6detail17trampoline_kernelINS0_14default_configENS1_25partition_config_selectorILNS1_17partition_subalgoE9EllbEEZZNS1_14partition_implILS5_9ELb0ES3_jPKlN6thrust23THRUST_200600_302600_NS17counting_iteratorIlNSB_11use_defaultESD_SD_EEPNS0_10empty_typeENS0_5tupleIJPlSF_EEENSH_IJSI_SG_EEENS0_18inequality_wrapperIN6hipcub16HIPCUB_304000_NS8EqualityEEESI_JSF_EEE10hipError_tPvRmT3_T4_T5_T6_T7_T9_mT8_P12ihipStream_tbDpT10_ENKUlT_T0_E_clISt17integral_constantIbLb0EES18_IbLb1EEEEDaS14_S15_EUlS14_E_NS1_11comp_targetILNS1_3genE5ELNS1_11target_archE942ELNS1_3gpuE9ELNS1_3repE0EEENS1_30default_config_static_selectorELNS0_4arch9wavefront6targetE1EEEvT1_
                                        ; -- End function
	.section	.AMDGPU.csdata,"",@progbits
; Kernel info:
; codeLenInByte = 0
; NumSgprs: 4
; NumVgprs: 0
; NumAgprs: 0
; TotalNumVgprs: 0
; ScratchSize: 0
; MemoryBound: 0
; FloatMode: 240
; IeeeMode: 1
; LDSByteSize: 0 bytes/workgroup (compile time only)
; SGPRBlocks: 0
; VGPRBlocks: 0
; NumSGPRsForWavesPerEU: 4
; NumVGPRsForWavesPerEU: 1
; AccumOffset: 4
; Occupancy: 8
; WaveLimiterHint : 0
; COMPUTE_PGM_RSRC2:SCRATCH_EN: 0
; COMPUTE_PGM_RSRC2:USER_SGPR: 6
; COMPUTE_PGM_RSRC2:TRAP_HANDLER: 0
; COMPUTE_PGM_RSRC2:TGID_X_EN: 1
; COMPUTE_PGM_RSRC2:TGID_Y_EN: 0
; COMPUTE_PGM_RSRC2:TGID_Z_EN: 0
; COMPUTE_PGM_RSRC2:TIDIG_COMP_CNT: 0
; COMPUTE_PGM_RSRC3_GFX90A:ACCUM_OFFSET: 0
; COMPUTE_PGM_RSRC3_GFX90A:TG_SPLIT: 0
	.section	.text._ZN7rocprim17ROCPRIM_400000_NS6detail17trampoline_kernelINS0_14default_configENS1_25partition_config_selectorILNS1_17partition_subalgoE9EllbEEZZNS1_14partition_implILS5_9ELb0ES3_jPKlN6thrust23THRUST_200600_302600_NS17counting_iteratorIlNSB_11use_defaultESD_SD_EEPNS0_10empty_typeENS0_5tupleIJPlSF_EEENSH_IJSI_SG_EEENS0_18inequality_wrapperIN6hipcub16HIPCUB_304000_NS8EqualityEEESI_JSF_EEE10hipError_tPvRmT3_T4_T5_T6_T7_T9_mT8_P12ihipStream_tbDpT10_ENKUlT_T0_E_clISt17integral_constantIbLb0EES18_IbLb1EEEEDaS14_S15_EUlS14_E_NS1_11comp_targetILNS1_3genE4ELNS1_11target_archE910ELNS1_3gpuE8ELNS1_3repE0EEENS1_30default_config_static_selectorELNS0_4arch9wavefront6targetE1EEEvT1_,"axG",@progbits,_ZN7rocprim17ROCPRIM_400000_NS6detail17trampoline_kernelINS0_14default_configENS1_25partition_config_selectorILNS1_17partition_subalgoE9EllbEEZZNS1_14partition_implILS5_9ELb0ES3_jPKlN6thrust23THRUST_200600_302600_NS17counting_iteratorIlNSB_11use_defaultESD_SD_EEPNS0_10empty_typeENS0_5tupleIJPlSF_EEENSH_IJSI_SG_EEENS0_18inequality_wrapperIN6hipcub16HIPCUB_304000_NS8EqualityEEESI_JSF_EEE10hipError_tPvRmT3_T4_T5_T6_T7_T9_mT8_P12ihipStream_tbDpT10_ENKUlT_T0_E_clISt17integral_constantIbLb0EES18_IbLb1EEEEDaS14_S15_EUlS14_E_NS1_11comp_targetILNS1_3genE4ELNS1_11target_archE910ELNS1_3gpuE8ELNS1_3repE0EEENS1_30default_config_static_selectorELNS0_4arch9wavefront6targetE1EEEvT1_,comdat
	.protected	_ZN7rocprim17ROCPRIM_400000_NS6detail17trampoline_kernelINS0_14default_configENS1_25partition_config_selectorILNS1_17partition_subalgoE9EllbEEZZNS1_14partition_implILS5_9ELb0ES3_jPKlN6thrust23THRUST_200600_302600_NS17counting_iteratorIlNSB_11use_defaultESD_SD_EEPNS0_10empty_typeENS0_5tupleIJPlSF_EEENSH_IJSI_SG_EEENS0_18inequality_wrapperIN6hipcub16HIPCUB_304000_NS8EqualityEEESI_JSF_EEE10hipError_tPvRmT3_T4_T5_T6_T7_T9_mT8_P12ihipStream_tbDpT10_ENKUlT_T0_E_clISt17integral_constantIbLb0EES18_IbLb1EEEEDaS14_S15_EUlS14_E_NS1_11comp_targetILNS1_3genE4ELNS1_11target_archE910ELNS1_3gpuE8ELNS1_3repE0EEENS1_30default_config_static_selectorELNS0_4arch9wavefront6targetE1EEEvT1_ ; -- Begin function _ZN7rocprim17ROCPRIM_400000_NS6detail17trampoline_kernelINS0_14default_configENS1_25partition_config_selectorILNS1_17partition_subalgoE9EllbEEZZNS1_14partition_implILS5_9ELb0ES3_jPKlN6thrust23THRUST_200600_302600_NS17counting_iteratorIlNSB_11use_defaultESD_SD_EEPNS0_10empty_typeENS0_5tupleIJPlSF_EEENSH_IJSI_SG_EEENS0_18inequality_wrapperIN6hipcub16HIPCUB_304000_NS8EqualityEEESI_JSF_EEE10hipError_tPvRmT3_T4_T5_T6_T7_T9_mT8_P12ihipStream_tbDpT10_ENKUlT_T0_E_clISt17integral_constantIbLb0EES18_IbLb1EEEEDaS14_S15_EUlS14_E_NS1_11comp_targetILNS1_3genE4ELNS1_11target_archE910ELNS1_3gpuE8ELNS1_3repE0EEENS1_30default_config_static_selectorELNS0_4arch9wavefront6targetE1EEEvT1_
	.globl	_ZN7rocprim17ROCPRIM_400000_NS6detail17trampoline_kernelINS0_14default_configENS1_25partition_config_selectorILNS1_17partition_subalgoE9EllbEEZZNS1_14partition_implILS5_9ELb0ES3_jPKlN6thrust23THRUST_200600_302600_NS17counting_iteratorIlNSB_11use_defaultESD_SD_EEPNS0_10empty_typeENS0_5tupleIJPlSF_EEENSH_IJSI_SG_EEENS0_18inequality_wrapperIN6hipcub16HIPCUB_304000_NS8EqualityEEESI_JSF_EEE10hipError_tPvRmT3_T4_T5_T6_T7_T9_mT8_P12ihipStream_tbDpT10_ENKUlT_T0_E_clISt17integral_constantIbLb0EES18_IbLb1EEEEDaS14_S15_EUlS14_E_NS1_11comp_targetILNS1_3genE4ELNS1_11target_archE910ELNS1_3gpuE8ELNS1_3repE0EEENS1_30default_config_static_selectorELNS0_4arch9wavefront6targetE1EEEvT1_
	.p2align	8
	.type	_ZN7rocprim17ROCPRIM_400000_NS6detail17trampoline_kernelINS0_14default_configENS1_25partition_config_selectorILNS1_17partition_subalgoE9EllbEEZZNS1_14partition_implILS5_9ELb0ES3_jPKlN6thrust23THRUST_200600_302600_NS17counting_iteratorIlNSB_11use_defaultESD_SD_EEPNS0_10empty_typeENS0_5tupleIJPlSF_EEENSH_IJSI_SG_EEENS0_18inequality_wrapperIN6hipcub16HIPCUB_304000_NS8EqualityEEESI_JSF_EEE10hipError_tPvRmT3_T4_T5_T6_T7_T9_mT8_P12ihipStream_tbDpT10_ENKUlT_T0_E_clISt17integral_constantIbLb0EES18_IbLb1EEEEDaS14_S15_EUlS14_E_NS1_11comp_targetILNS1_3genE4ELNS1_11target_archE910ELNS1_3gpuE8ELNS1_3repE0EEENS1_30default_config_static_selectorELNS0_4arch9wavefront6targetE1EEEvT1_,@function
_ZN7rocprim17ROCPRIM_400000_NS6detail17trampoline_kernelINS0_14default_configENS1_25partition_config_selectorILNS1_17partition_subalgoE9EllbEEZZNS1_14partition_implILS5_9ELb0ES3_jPKlN6thrust23THRUST_200600_302600_NS17counting_iteratorIlNSB_11use_defaultESD_SD_EEPNS0_10empty_typeENS0_5tupleIJPlSF_EEENSH_IJSI_SG_EEENS0_18inequality_wrapperIN6hipcub16HIPCUB_304000_NS8EqualityEEESI_JSF_EEE10hipError_tPvRmT3_T4_T5_T6_T7_T9_mT8_P12ihipStream_tbDpT10_ENKUlT_T0_E_clISt17integral_constantIbLb0EES18_IbLb1EEEEDaS14_S15_EUlS14_E_NS1_11comp_targetILNS1_3genE4ELNS1_11target_archE910ELNS1_3gpuE8ELNS1_3repE0EEENS1_30default_config_static_selectorELNS0_4arch9wavefront6targetE1EEEvT1_: ; @_ZN7rocprim17ROCPRIM_400000_NS6detail17trampoline_kernelINS0_14default_configENS1_25partition_config_selectorILNS1_17partition_subalgoE9EllbEEZZNS1_14partition_implILS5_9ELb0ES3_jPKlN6thrust23THRUST_200600_302600_NS17counting_iteratorIlNSB_11use_defaultESD_SD_EEPNS0_10empty_typeENS0_5tupleIJPlSF_EEENSH_IJSI_SG_EEENS0_18inequality_wrapperIN6hipcub16HIPCUB_304000_NS8EqualityEEESI_JSF_EEE10hipError_tPvRmT3_T4_T5_T6_T7_T9_mT8_P12ihipStream_tbDpT10_ENKUlT_T0_E_clISt17integral_constantIbLb0EES18_IbLb1EEEEDaS14_S15_EUlS14_E_NS1_11comp_targetILNS1_3genE4ELNS1_11target_archE910ELNS1_3gpuE8ELNS1_3repE0EEENS1_30default_config_static_selectorELNS0_4arch9wavefront6targetE1EEEvT1_
; %bb.0:
	s_load_dwordx4 s[8:11], s[4:5], 0x8
	s_load_dwordx2 s[6:7], s[4:5], 0x18
	s_load_dwordx4 s[20:23], s[4:5], 0x40
	s_load_dwordx2 s[16:17], s[4:5], 0x50
	s_load_dwordx2 s[30:31], s[4:5], 0x60
	v_cmp_ne_u32_e64 s[2:3], 0, v0
	v_cmp_eq_u32_e64 s[0:1], 0, v0
	s_and_saveexec_b64 s[12:13], s[0:1]
	s_cbranch_execz .LBB70_4
; %bb.1:
	s_mov_b64 s[18:19], exec
	v_mbcnt_lo_u32_b32 v1, s18, 0
	v_mbcnt_hi_u32_b32 v1, s19, v1
	v_cmp_eq_u32_e32 vcc, 0, v1
                                        ; implicit-def: $vgpr2
	s_and_saveexec_b64 s[14:15], vcc
	s_cbranch_execz .LBB70_3
; %bb.2:
	s_load_dwordx2 s[24:25], s[4:5], 0x70
	s_bcnt1_i32_b64 s18, s[18:19]
	v_mov_b32_e32 v2, 0
	v_mov_b32_e32 v3, s18
	s_waitcnt lgkmcnt(0)
	global_atomic_add v2, v2, v3, s[24:25] glc
.LBB70_3:
	s_or_b64 exec, exec, s[14:15]
	s_waitcnt vmcnt(0)
	v_readfirstlane_b32 s14, v2
	v_add_u32_e32 v1, s14, v1
	v_mov_b32_e32 v2, 0
	ds_write_b32 v2, v1
.LBB70_4:
	s_or_b64 exec, exec, s[12:13]
	v_mov_b32_e32 v19, 0
	s_load_dwordx4 s[24:27], s[4:5], 0x28
	s_load_dword s12, s[4:5], 0x68
	s_waitcnt lgkmcnt(0)
	s_barrier
	ds_read_b32 v6, v19
	s_waitcnt lgkmcnt(0)
	s_barrier
	global_load_dwordx2 v[2:3], v19, s[22:23]
	s_lshl_b64 s[4:5], s[10:11], 3
	v_mov_b32_e32 v5, s17
	s_add_u32 s17, s8, s4
	s_addc_u32 s9, s9, s5
	s_add_i32 s13, s12, -1
	s_lshl_b32 s5, s13, 9
	v_readfirstlane_b32 s33, v6
	s_lshl_b32 s4, s12, 9
	s_add_i32 s8, s10, s5
	s_lshl_b32 s14, s33, 9
	s_add_u32 s4, s10, s4
	s_addc_u32 s5, s11, 0
	v_mov_b32_e32 v4, s16
	s_cmp_eq_u32 s33, s13
	v_cmp_ge_u64_e32 vcc, s[4:5], v[4:5]
	s_cselect_b64 s[22:23], -1, 0
	s_mov_b32 s15, 0
	s_and_b64 s[12:13], vcc, s[22:23]
	s_lshl_b64 s[4:5], s[14:15], 3
	s_xor_b64 s[28:29], s[12:13], -1
	s_add_u32 s4, s17, s4
	s_mov_b64 s[34:35], -1
	v_lshrrev_b32_e32 v1, 2, v0
	s_addc_u32 s5, s9, s5
	s_and_b64 vcc, exec, s[28:29]
	s_waitcnt vmcnt(0)
	v_readfirstlane_b32 s18, v2
	v_readfirstlane_b32 s19, v3
	s_cbranch_vccz .LBB70_6
; %bb.5:
	v_lshlrev_b32_e32 v10, 3, v0
	global_load_dwordx2 v[2:3], v10, s[4:5]
	global_load_dwordx2 v[4:5], v10, s[4:5] offset:1024
	global_load_dwordx2 v[6:7], v10, s[4:5] offset:2048
	;; [unrolled: 1-line block ×3, first 2 shown]
	v_or_b32_e32 v12, 0x80, v0
	v_or_b32_e32 v13, 0x100, v0
	;; [unrolled: 1-line block ×3, first 2 shown]
	v_and_b32_e32 v11, 24, v1
	v_lshrrev_b32_e32 v12, 2, v12
	v_lshrrev_b32_e32 v13, 2, v13
	;; [unrolled: 1-line block ×3, first 2 shown]
	v_add_u32_e32 v11, v11, v10
	v_and_b32_e32 v12, 56, v12
	v_and_b32_e32 v13, 0x58, v13
	;; [unrolled: 1-line block ×3, first 2 shown]
	v_add_u32_e32 v12, v12, v10
	v_add_u32_e32 v13, v13, v10
	;; [unrolled: 1-line block ×3, first 2 shown]
	s_waitcnt vmcnt(3)
	ds_write_b64 v11, v[2:3]
	s_waitcnt vmcnt(2)
	ds_write_b64 v12, v[4:5] offset:1024
	s_waitcnt vmcnt(1)
	ds_write_b64 v13, v[6:7] offset:2048
	;; [unrolled: 2-line block ×3, first 2 shown]
	s_waitcnt lgkmcnt(0)
	s_barrier
	s_sub_i32 s34, s16, s8
	s_cbranch_execz .LBB70_7
	s_branch .LBB70_18
.LBB70_6:
                                        ; implicit-def: $vgpr18_vgpr19
	s_andn2_b64 vcc, exec, s[34:35]
	s_sub_i32 s34, s16, s8
	s_cbranch_vccnz .LBB70_18
.LBB70_7:
	v_cmp_gt_u32_e32 vcc, s34, v0
                                        ; implicit-def: $vgpr2_vgpr3_vgpr4_vgpr5_vgpr6_vgpr7_vgpr8_vgpr9
	s_and_saveexec_b64 s[8:9], vcc
	s_cbranch_execz .LBB70_9
; %bb.8:
	v_lshlrev_b32_e32 v2, 3, v0
	global_load_dwordx2 v[2:3], v2, s[4:5]
.LBB70_9:
	s_or_b64 exec, exec, s[8:9]
	v_or_b32_e32 v10, 0x80, v0
	v_cmp_gt_u32_e32 vcc, s34, v10
	s_and_saveexec_b64 s[8:9], vcc
	s_cbranch_execz .LBB70_11
; %bb.10:
	v_lshlrev_b32_e32 v4, 3, v0
	global_load_dwordx2 v[4:5], v4, s[4:5] offset:1024
.LBB70_11:
	s_or_b64 exec, exec, s[8:9]
	v_or_b32_e32 v11, 0x100, v0
	v_cmp_gt_u32_e32 vcc, s34, v11
	s_and_saveexec_b64 s[8:9], vcc
	s_cbranch_execz .LBB70_13
; %bb.12:
	v_lshlrev_b32_e32 v6, 3, v0
	global_load_dwordx2 v[6:7], v6, s[4:5] offset:2048
.LBB70_13:
	s_or_b64 exec, exec, s[8:9]
	v_or_b32_e32 v12, 0x180, v0
	v_cmp_le_u32_e32 vcc, s34, v12
	s_and_saveexec_b64 s[8:9], vcc
	s_xor_b64 s[8:9], exec, s[8:9]
                                        ; implicit-def: $vgpr18_vgpr19
; %bb.14:
	v_mov_b32_e32 v19, 0
; %bb.15:
	s_andn2_saveexec_b64 s[8:9], s[8:9]
	s_cbranch_execz .LBB70_17
; %bb.16:
	v_lshlrev_b32_e32 v8, 3, v0
	global_load_dwordx2 v[8:9], v8, s[4:5] offset:3072
	v_mov_b32_e32 v19, 0
.LBB70_17:
	s_or_b64 exec, exec, s[8:9]
	v_and_b32_e32 v13, 24, v1
	v_lshlrev_b32_e32 v14, 3, v0
	v_add_u32_e32 v13, v13, v14
	s_waitcnt vmcnt(0)
	ds_write_b64 v13, v[2:3]
	v_lshrrev_b32_e32 v2, 2, v10
	v_and_b32_e32 v2, 56, v2
	v_add_u32_e32 v2, v2, v14
	ds_write_b64 v2, v[4:5] offset:1024
	v_lshrrev_b32_e32 v2, 2, v11
	v_and_b32_e32 v2, 0x78, v2
	v_add_u32_e32 v2, v2, v14
	ds_write_b64 v2, v[6:7] offset:2048
	;; [unrolled: 4-line block ×3, first 2 shown]
	s_waitcnt lgkmcnt(0)
	s_barrier
.LBB70_18:
	s_add_u32 s6, s6, s10
	v_lshlrev_b32_e32 v29, 2, v0
	v_lshrrev_b32_e32 v2, 3, v0
	s_addc_u32 s7, s7, s11
	v_add_lshl_u32 v4, v2, v29, 3
	ds_read2_b64 v[14:17], v4 offset1:1
	ds_read2_b64 v[10:13], v4 offset0:2 offset1:3
	s_add_u32 s8, s6, s14
	s_addc_u32 s9, s7, 0
	v_mov_b32_e32 v3, s9
	v_add_co_u32_e32 v2, vcc, s8, v0
	v_addc_co_u32_e32 v3, vcc, v19, v3, vcc
	s_mov_b64 s[6:7], -1
	s_and_b64 vcc, exec, s[28:29]
	s_waitcnt lgkmcnt(0)
	s_barrier
	s_cbranch_vccz .LBB70_20
; %bb.19:
	v_and_b32_e32 v5, 24, v1
	v_lshlrev_b32_e32 v20, 3, v0
	v_add_u32_e32 v5, v5, v20
	ds_write_b64 v5, v[2:3]
	v_or_b32_e32 v5, 0x80, v0
	v_lshrrev_b32_e32 v5, 2, v5
	v_add_co_u32_e32 v6, vcc, 0x80, v2
	v_and_b32_e32 v5, 56, v5
	v_addc_co_u32_e32 v7, vcc, 0, v3, vcc
	v_add_u32_e32 v5, v5, v20
	ds_write_b64 v5, v[6:7] offset:1024
	v_or_b32_e32 v5, 0x100, v0
	v_lshrrev_b32_e32 v5, 2, v5
	v_add_co_u32_e32 v8, vcc, 0x100, v2
	v_and_b32_e32 v5, 0x58, v5
	v_addc_co_u32_e32 v9, vcc, 0, v3, vcc
	v_add_u32_e32 v5, v5, v20
	ds_write_b64 v5, v[8:9] offset:2048
	;; [unrolled: 7-line block ×3, first 2 shown]
	s_waitcnt lgkmcnt(0)
	s_barrier
	s_mov_b64 s[6:7], 0
.LBB70_20:
	s_andn2_b64 vcc, exec, s[6:7]
	s_cbranch_vccnz .LBB70_22
; %bb.21:
	v_and_b32_e32 v1, 24, v1
	v_lshlrev_b32_e32 v22, 3, v0
	v_or_b32_e32 v5, 0x80, v0
	v_add_u32_e32 v1, v1, v22
	ds_write_b64 v1, v[2:3]
	v_lshrrev_b32_e32 v1, 2, v5
	v_mov_b32_e32 v7, s9
	v_add_co_u32_e32 v6, vcc, s8, v5
	v_and_b32_e32 v1, 56, v1
	v_addc_co_u32_e32 v7, vcc, 0, v7, vcc
	v_or_b32_e32 v20, 0x100, v0
	v_add_u32_e32 v1, v1, v22
	ds_write_b64 v1, v[6:7] offset:1024
	v_lshrrev_b32_e32 v1, 2, v20
	v_mov_b32_e32 v9, s9
	v_add_co_u32_e32 v8, vcc, s8, v20
	v_and_b32_e32 v1, 0x58, v1
	v_addc_co_u32_e32 v9, vcc, 0, v9, vcc
	v_or_b32_e32 v21, 0x180, v0
	v_add_u32_e32 v1, v1, v22
	ds_write_b64 v1, v[8:9] offset:2048
	v_lshrrev_b32_e32 v1, 2, v21
	v_mov_b32_e32 v19, s9
	v_add_co_u32_e32 v18, vcc, s8, v21
	v_and_b32_e32 v1, 0x78, v1
	v_addc_co_u32_e32 v19, vcc, 0, v19, vcc
	v_add_u32_e32 v1, v1, v22
	ds_write_b64 v1, v[18:19] offset:3072
	s_waitcnt lgkmcnt(0)
	s_barrier
.LBB70_22:
	ds_read2_b64 v[6:9], v4 offset1:1
	ds_read2_b64 v[2:5], v4 offset0:2 offset1:3
	s_cmp_lg_u32 s33, 0
	s_cselect_b64 s[16:17], -1, 0
	s_cmp_lg_u64 s[10:11], 0
	s_cselect_b64 s[6:7], -1, 0
	s_or_b64 s[6:7], s[6:7], s[16:17]
	s_mov_b64 s[14:15], 0
	s_and_b64 vcc, exec, s[6:7]
	s_waitcnt lgkmcnt(0)
	s_barrier
	s_cbranch_vccz .LBB70_27
; %bb.23:
	v_mov_b32_e32 v1, 0
	global_load_dwordx2 v[18:19], v1, s[4:5] offset:-8
	v_lshlrev_b32_e32 v22, 3, v0
	s_and_b64 vcc, exec, s[28:29]
	ds_write_b64 v22, v[12:13]
	s_cbranch_vccz .LBB70_28
; %bb.24:
	s_waitcnt vmcnt(0)
	v_pk_mov_b32 v[20:21], v[18:19], v[18:19] op_sel:[0,1]
	s_waitcnt lgkmcnt(0)
	s_barrier
	s_and_saveexec_b64 s[4:5], s[2:3]
	s_cbranch_execz .LBB70_26
; %bb.25:
	v_add_u32_e32 v1, -8, v22
	ds_read_b64 v[20:21], v1
.LBB70_26:
	s_or_b64 exec, exec, s[4:5]
	v_cmp_ne_u64_e32 vcc, v[10:11], v[12:13]
	v_cndmask_b32_e64 v1, 0, 1, vcc
	v_cmp_ne_u64_e32 vcc, v[16:17], v[10:11]
	v_cndmask_b32_e64 v23, 0, 1, vcc
	;; [unrolled: 2-line block ×3, first 2 shown]
	v_lshlrev_b16_e32 v1, 8, v1
	v_or_b32_sdwa v1, v23, v1 dst_sel:WORD_1 dst_unused:UNUSED_PAD src0_sel:DWORD src1_sel:DWORD
	v_lshlrev_b16_e32 v23, 8, v24
	v_or_b32_e32 v1, v23, v1
	s_waitcnt lgkmcnt(0)
	v_cmp_ne_u64_e64 s[4:5], v[20:21], v[14:15]
	s_branch .LBB70_32
.LBB70_27:
                                        ; implicit-def: $sgpr4_sgpr5
                                        ; implicit-def: $vgpr1
	s_branch .LBB70_33
.LBB70_28:
                                        ; implicit-def: $sgpr4_sgpr5
                                        ; implicit-def: $vgpr1
	s_cbranch_execz .LBB70_32
; %bb.29:
	s_waitcnt lgkmcnt(0)
	s_barrier
	s_and_saveexec_b64 s[4:5], s[2:3]
	s_cbranch_execz .LBB70_31
; %bb.30:
	v_add_u32_e32 v1, -8, v22
	s_waitcnt vmcnt(0)
	ds_read_b64 v[18:19], v1
.LBB70_31:
	s_or_b64 exec, exec, s[4:5]
	v_or_b32_e32 v1, 3, v29
	v_cmp_gt_u32_e32 vcc, s34, v1
	v_cmp_ne_u64_e64 s[4:5], v[10:11], v[12:13]
	s_and_b64 s[4:5], vcc, s[4:5]
	v_or_b32_e32 v20, 2, v29
	v_cndmask_b32_e64 v1, 0, 1, s[4:5]
	v_cmp_gt_u32_e32 vcc, s34, v20
	v_cmp_ne_u64_e64 s[4:5], v[16:17], v[10:11]
	s_and_b64 s[4:5], vcc, s[4:5]
	v_or_b32_e32 v21, 1, v29
	v_cndmask_b32_e64 v20, 0, 1, s[4:5]
	v_cmp_gt_u32_e32 vcc, s34, v21
	v_cmp_ne_u64_e64 s[4:5], v[14:15], v[16:17]
	s_and_b64 s[4:5], vcc, s[4:5]
	v_cndmask_b32_e64 v21, 0, 1, s[4:5]
	v_lshlrev_b16_e32 v1, 8, v1
	v_or_b32_sdwa v1, v20, v1 dst_sel:WORD_1 dst_unused:UNUSED_PAD src0_sel:DWORD src1_sel:DWORD
	v_lshlrev_b16_e32 v20, 8, v21
	v_cmp_gt_u32_e32 vcc, s34, v29
	s_waitcnt vmcnt(0) lgkmcnt(0)
	v_cmp_ne_u64_e64 s[4:5], v[18:19], v[14:15]
	v_or_b32_e32 v1, v20, v1
	s_and_b64 s[4:5], vcc, s[4:5]
.LBB70_32:
	s_mov_b64 s[14:15], -1
	s_cbranch_execnz .LBB70_41
.LBB70_33:
	s_waitcnt vmcnt(0)
	v_lshlrev_b32_e32 v18, 3, v0
	s_and_b64 vcc, exec, s[28:29]
	v_cmp_ne_u64_e64 s[4:5], v[10:11], v[12:13]
	v_cmp_ne_u64_e64 s[6:7], v[16:17], v[10:11]
	;; [unrolled: 1-line block ×3, first 2 shown]
	ds_write_b64 v18, v[12:13]
	s_cbranch_vccz .LBB70_37
; %bb.34:
	v_cndmask_b32_e64 v1, 0, 1, s[4:5]
	v_cndmask_b32_e64 v19, 0, 1, s[6:7]
	;; [unrolled: 1-line block ×3, first 2 shown]
	v_lshlrev_b16_e32 v1, 8, v1
	v_or_b32_sdwa v1, v19, v1 dst_sel:WORD_1 dst_unused:UNUSED_PAD src0_sel:DWORD src1_sel:DWORD
	v_lshlrev_b16_e32 v19, 8, v20
	v_or_b32_e32 v19, 1, v19
	v_or_b32_sdwa v1, v19, v1 dst_sel:DWORD dst_unused:UNUSED_PAD src0_sel:WORD_0 src1_sel:DWORD
	s_waitcnt lgkmcnt(0)
	s_barrier
	s_waitcnt lgkmcnt(0)
                                        ; implicit-def: $sgpr4_sgpr5
	s_and_saveexec_b64 s[6:7], s[2:3]
	s_xor_b64 s[6:7], exec, s[6:7]
	s_cbranch_execz .LBB70_36
; %bb.35:
	v_add_u32_e32 v19, -8, v18
	ds_read_b64 v[20:21], v19
	s_or_b64 s[14:15], s[14:15], exec
	s_waitcnt lgkmcnt(0)
	v_cmp_ne_u64_e32 vcc, v[20:21], v[14:15]
	s_and_b64 s[4:5], vcc, exec
.LBB70_36:
	s_or_b64 exec, exec, s[6:7]
	s_branch .LBB70_41
.LBB70_37:
                                        ; implicit-def: $sgpr4_sgpr5
                                        ; implicit-def: $vgpr1
	s_cbranch_execz .LBB70_41
; %bb.38:
	v_or_b32_e32 v1, 3, v29
	v_cmp_gt_u32_e32 vcc, s34, v1
	v_cmp_ne_u64_e64 s[4:5], v[10:11], v[12:13]
	s_and_b64 s[4:5], vcc, s[4:5]
	v_or_b32_e32 v19, 2, v29
	v_cndmask_b32_e64 v1, 0, 1, s[4:5]
	v_cmp_gt_u32_e32 vcc, s34, v19
	v_cmp_ne_u64_e64 s[4:5], v[16:17], v[10:11]
	s_and_b64 s[4:5], vcc, s[4:5]
	v_or_b32_e32 v20, 1, v29
	v_cndmask_b32_e64 v19, 0, 1, s[4:5]
	v_cmp_gt_u32_e32 vcc, s34, v20
	v_cmp_ne_u64_e64 s[4:5], v[14:15], v[16:17]
	s_and_b64 s[4:5], vcc, s[4:5]
	v_cndmask_b32_e64 v20, 0, 1, s[4:5]
	v_lshlrev_b16_e32 v1, 8, v1
	v_or_b32_sdwa v1, v19, v1 dst_sel:WORD_1 dst_unused:UNUSED_PAD src0_sel:DWORD src1_sel:DWORD
	v_lshlrev_b16_e32 v19, 8, v20
	v_or_b32_e32 v19, 1, v19
	v_or_b32_sdwa v1, v19, v1 dst_sel:DWORD dst_unused:UNUSED_PAD src0_sel:WORD_0 src1_sel:DWORD
	s_waitcnt lgkmcnt(0)
	s_barrier
	s_waitcnt lgkmcnt(0)
                                        ; implicit-def: $sgpr4_sgpr5
	s_and_saveexec_b64 s[6:7], s[2:3]
	s_cbranch_execz .LBB70_40
; %bb.39:
	v_add_u32_e32 v18, -8, v18
	ds_read_b64 v[18:19], v18
	v_cmp_gt_u32_e32 vcc, s34, v29
	s_or_b64 s[14:15], s[14:15], exec
	s_waitcnt lgkmcnt(0)
	v_cmp_ne_u64_e64 s[2:3], v[18:19], v[14:15]
	s_and_b64 s[2:3], vcc, s[2:3]
	s_and_b64 s[4:5], s[2:3], exec
.LBB70_40:
	s_or_b64 exec, exec, s[6:7]
.LBB70_41:
	s_and_saveexec_b64 s[2:3], s[14:15]
	s_cbranch_execz .LBB70_43
; %bb.42:
	s_waitcnt vmcnt(0)
	v_and_b32_e32 v18, 0xffffff00, v1
	v_cndmask_b32_e64 v19, 0, 1, s[4:5]
	v_or_b32_e32 v18, v19, v18
	v_and_b32_e32 v18, 0xffff, v18
	s_mov_b32 s4, 0xffff0000
	v_and_or_b32 v1, v1, s4, v18
.LBB70_43:
	s_or_b64 exec, exec, s[2:3]
	s_andn2_b64 vcc, exec, s[12:13]
	s_cbranch_vccnz .LBB70_45
; %bb.44:
	v_cmp_gt_u32_e32 vcc, s34, v29
	s_waitcnt vmcnt(0)
	v_cndmask_b32_e32 v18, 0, v1, vcc
	v_or_b32_e32 v19, 1, v29
	v_and_b32_e32 v18, 0xff, v18
	v_cmp_gt_u32_e32 vcc, s34, v19
	v_cndmask_b32_e32 v18, v18, v1, vcc
	v_or_b32_e32 v19, 2, v29
	v_and_b32_e32 v18, 0xffff, v18
	v_cmp_gt_u32_e32 vcc, s34, v19
	;; [unrolled: 4-line block ×3, first 2 shown]
	v_cndmask_b32_e32 v1, v18, v1, vcc
.LBB70_45:
	v_bfe_u32 v30, v1, 16, 8
	v_lshrrev_b32_e32 v28, 24, v1
	s_waitcnt vmcnt(0)
	v_add_u32_sdwa v18, v1, v1 dst_sel:DWORD dst_unused:UNUSED_PAD src0_sel:BYTE_1 src1_sel:BYTE_0
	v_add3_u32 v33, v18, v30, v28
	v_mbcnt_lo_u32_b32 v18, -1, 0
	v_mbcnt_hi_u32_b32 v31, -1, v18
	v_and_b32_e32 v18, 15, v31
	v_cmp_eq_u32_e64 s[14:15], 0, v18
	v_cmp_lt_u32_e64 s[12:13], 1, v18
	v_cmp_lt_u32_e64 s[10:11], 3, v18
	;; [unrolled: 1-line block ×3, first 2 shown]
	v_and_b32_e32 v18, 16, v31
	v_cmp_eq_u32_e64 s[6:7], 0, v18
	v_or_b32_e32 v18, 63, v0
	v_cmp_lt_u32_e64 s[2:3], 31, v31
	v_lshrrev_b32_e32 v32, 6, v0
	v_cmp_eq_u32_e64 s[4:5], v18, v0
	s_and_b64 vcc, exec, s[16:17]
	s_waitcnt lgkmcnt(0)
	s_barrier
	s_cbranch_vccz .LBB70_72
; %bb.46:
	v_mov_b32_dpp v18, v33 row_shr:1 row_mask:0xf bank_mask:0xf
	v_cndmask_b32_e64 v18, v18, 0, s[14:15]
	v_add_u32_e32 v18, v18, v33
	s_nop 1
	v_mov_b32_dpp v19, v18 row_shr:2 row_mask:0xf bank_mask:0xf
	v_cndmask_b32_e64 v19, 0, v19, s[12:13]
	v_add_u32_e32 v18, v18, v19
	s_nop 1
	;; [unrolled: 4-line block ×4, first 2 shown]
	v_mov_b32_dpp v19, v18 row_bcast:15 row_mask:0xf bank_mask:0xf
	v_cndmask_b32_e64 v19, v19, 0, s[6:7]
	v_add_u32_e32 v18, v18, v19
	s_nop 1
	v_mov_b32_dpp v19, v18 row_bcast:31 row_mask:0xf bank_mask:0xf
	v_cndmask_b32_e64 v19, 0, v19, s[2:3]
	v_add_u32_e32 v18, v18, v19
	s_and_saveexec_b64 s[16:17], s[4:5]
	s_cbranch_execz .LBB70_48
; %bb.47:
	v_lshlrev_b32_e32 v19, 2, v32
	ds_write_b32 v19, v18
.LBB70_48:
	s_or_b64 exec, exec, s[16:17]
	v_cmp_gt_u32_e32 vcc, 2, v0
	s_waitcnt lgkmcnt(0)
	s_barrier
	s_and_saveexec_b64 s[16:17], vcc
	s_cbranch_execz .LBB70_50
; %bb.49:
	ds_read_b32 v19, v29
	v_bfe_i32 v20, v31, 0, 1
	s_waitcnt lgkmcnt(0)
	v_mov_b32_dpp v21, v19 row_shr:1 row_mask:0xf bank_mask:0xf
	v_and_b32_e32 v20, v20, v21
	v_add_u32_e32 v19, v20, v19
	ds_write_b32 v29, v19
.LBB70_50:
	s_or_b64 exec, exec, s[16:17]
	v_cmp_gt_u32_e32 vcc, 64, v0
	v_cmp_lt_u32_e64 s[16:17], 63, v0
	s_waitcnt lgkmcnt(0)
	s_barrier
	s_waitcnt lgkmcnt(0)
                                        ; implicit-def: $vgpr34
	s_and_saveexec_b64 s[34:35], s[16:17]
	s_cbranch_execz .LBB70_52
; %bb.51:
	v_lshl_add_u32 v19, v32, 2, -4
	ds_read_b32 v34, v19
	s_waitcnt lgkmcnt(0)
	v_add_u32_e32 v18, v34, v18
.LBB70_52:
	s_or_b64 exec, exec, s[34:35]
	v_add_u32_e32 v19, -1, v31
	v_and_b32_e32 v20, 64, v31
	v_cmp_lt_i32_e64 s[16:17], v19, v20
	v_cndmask_b32_e64 v19, v19, v31, s[16:17]
	v_lshlrev_b32_e32 v19, 2, v19
	ds_bpermute_b32 v35, v19, v18
	v_cmp_eq_u32_e64 s[16:17], 0, v31
	s_and_saveexec_b64 s[34:35], vcc
	s_cbranch_execz .LBB70_71
; %bb.53:
	v_mov_b32_e32 v25, 0
	ds_read_b32 v18, v25 offset:4
	s_and_saveexec_b64 s[36:37], s[16:17]
	s_cbranch_execz .LBB70_55
; %bb.54:
	s_add_i32 s38, s33, 64
	s_mov_b32 s39, 0
	s_lshl_b64 s[38:39], s[38:39], 3
	s_add_u32 s38, s30, s38
	v_mov_b32_e32 v19, 1
	s_addc_u32 s39, s31, s39
	s_waitcnt lgkmcnt(0)
	global_store_dwordx2 v25, v[18:19], s[38:39]
.LBB70_55:
	s_or_b64 exec, exec, s[36:37]
	v_xad_u32 v20, v31, -1, s33
	v_add_u32_e32 v24, 64, v20
	v_lshlrev_b64 v[22:23], 3, v[24:25]
	v_mov_b32_e32 v19, s31
	v_add_co_u32_e32 v26, vcc, s30, v22
	v_addc_co_u32_e32 v27, vcc, v19, v23, vcc
	global_load_dwordx2 v[22:23], v[26:27], off glc
	s_waitcnt vmcnt(0)
	v_cmp_eq_u16_sdwa s[38:39], v23, v25 src0_sel:BYTE_0 src1_sel:DWORD
	s_and_saveexec_b64 s[36:37], s[38:39]
	s_cbranch_execz .LBB70_59
; %bb.56:
	s_mov_b64 s[38:39], 0
	v_mov_b32_e32 v19, 0
.LBB70_57:                              ; =>This Inner Loop Header: Depth=1
	global_load_dwordx2 v[22:23], v[26:27], off glc
	s_waitcnt vmcnt(0)
	v_cmp_ne_u16_sdwa s[40:41], v23, v19 src0_sel:BYTE_0 src1_sel:DWORD
	s_or_b64 s[38:39], s[40:41], s[38:39]
	s_andn2_b64 exec, exec, s[38:39]
	s_cbranch_execnz .LBB70_57
; %bb.58:
	s_or_b64 exec, exec, s[38:39]
.LBB70_59:
	s_or_b64 exec, exec, s[36:37]
	v_and_b32_e32 v37, 63, v31
	v_mov_b32_e32 v36, 2
	v_cmp_ne_u32_e32 vcc, 63, v37
	v_cmp_eq_u16_sdwa s[36:37], v23, v36 src0_sel:BYTE_0 src1_sel:DWORD
	v_lshlrev_b64 v[24:25], v31, -1
	v_addc_co_u32_e32 v26, vcc, 0, v31, vcc
	v_and_b32_e32 v19, s37, v25
	v_lshlrev_b32_e32 v38, 2, v26
	v_or_b32_e32 v19, 0x80000000, v19
	ds_bpermute_b32 v26, v38, v22
	v_and_b32_e32 v21, s36, v24
	v_ffbl_b32_e32 v19, v19
	v_add_u32_e32 v19, 32, v19
	v_ffbl_b32_e32 v21, v21
	v_min_u32_e32 v19, v21, v19
	v_cmp_lt_u32_e32 vcc, v37, v19
	s_waitcnt lgkmcnt(0)
	v_cndmask_b32_e32 v21, 0, v26, vcc
	v_cmp_gt_u32_e32 vcc, 62, v37
	v_add_u32_e32 v21, v21, v22
	v_cndmask_b32_e64 v22, 0, 1, vcc
	v_lshlrev_b32_e32 v22, 1, v22
	v_add_lshl_u32 v39, v22, v31, 2
	ds_bpermute_b32 v22, v39, v21
	v_add_u32_e32 v40, 2, v37
	v_cmp_le_u32_e32 vcc, v40, v19
	v_add_u32_e32 v42, 4, v37
	v_add_u32_e32 v44, 8, v37
	s_waitcnt lgkmcnt(0)
	v_cndmask_b32_e32 v22, 0, v22, vcc
	v_cmp_gt_u32_e32 vcc, 60, v37
	v_add_u32_e32 v21, v21, v22
	v_cndmask_b32_e64 v22, 0, 1, vcc
	v_lshlrev_b32_e32 v22, 2, v22
	v_add_lshl_u32 v41, v22, v31, 2
	ds_bpermute_b32 v22, v41, v21
	v_cmp_le_u32_e32 vcc, v42, v19
	v_add_u32_e32 v46, 16, v37
	v_add_u32_e32 v48, 32, v37
	s_waitcnt lgkmcnt(0)
	v_cndmask_b32_e32 v22, 0, v22, vcc
	v_cmp_gt_u32_e32 vcc, 56, v37
	v_add_u32_e32 v21, v21, v22
	v_cndmask_b32_e64 v22, 0, 1, vcc
	v_lshlrev_b32_e32 v22, 3, v22
	v_add_lshl_u32 v43, v22, v31, 2
	ds_bpermute_b32 v22, v43, v21
	v_cmp_le_u32_e32 vcc, v44, v19
	s_waitcnt lgkmcnt(0)
	v_cndmask_b32_e32 v22, 0, v22, vcc
	v_cmp_gt_u32_e32 vcc, 48, v37
	v_add_u32_e32 v21, v21, v22
	v_cndmask_b32_e64 v22, 0, 1, vcc
	v_lshlrev_b32_e32 v22, 4, v22
	v_add_lshl_u32 v45, v22, v31, 2
	ds_bpermute_b32 v22, v45, v21
	v_cmp_le_u32_e32 vcc, v46, v19
	s_waitcnt lgkmcnt(0)
	v_cndmask_b32_e32 v22, 0, v22, vcc
	v_cmp_gt_u32_e32 vcc, 32, v37
	v_add_u32_e32 v21, v21, v22
	v_cndmask_b32_e64 v22, 0, 1, vcc
	v_lshlrev_b32_e32 v22, 5, v22
	v_add_lshl_u32 v47, v22, v31, 2
	ds_bpermute_b32 v22, v47, v21
	v_cmp_le_u32_e32 vcc, v48, v19
	s_waitcnt lgkmcnt(0)
	v_cndmask_b32_e32 v19, 0, v22, vcc
	v_add_u32_e32 v22, v21, v19
	v_mov_b32_e32 v21, 0
	s_branch .LBB70_61
.LBB70_60:                              ;   in Loop: Header=BB70_61 Depth=1
	s_or_b64 exec, exec, s[36:37]
	v_cmp_eq_u16_sdwa s[36:37], v23, v36 src0_sel:BYTE_0 src1_sel:DWORD
	v_and_b32_e32 v26, s37, v25
	v_or_b32_e32 v26, 0x80000000, v26
	ds_bpermute_b32 v49, v38, v22
	v_and_b32_e32 v27, s36, v24
	v_ffbl_b32_e32 v26, v26
	v_add_u32_e32 v26, 32, v26
	v_ffbl_b32_e32 v27, v27
	v_min_u32_e32 v26, v27, v26
	v_cmp_lt_u32_e32 vcc, v37, v26
	s_waitcnt lgkmcnt(0)
	v_cndmask_b32_e32 v27, 0, v49, vcc
	v_add_u32_e32 v22, v27, v22
	ds_bpermute_b32 v27, v39, v22
	v_cmp_le_u32_e32 vcc, v40, v26
	v_subrev_u32_e32 v20, 64, v20
	s_waitcnt lgkmcnt(0)
	v_cndmask_b32_e32 v27, 0, v27, vcc
	v_add_u32_e32 v22, v22, v27
	ds_bpermute_b32 v27, v41, v22
	v_cmp_le_u32_e32 vcc, v42, v26
	s_waitcnt lgkmcnt(0)
	v_cndmask_b32_e32 v27, 0, v27, vcc
	v_add_u32_e32 v22, v22, v27
	ds_bpermute_b32 v27, v43, v22
	v_cmp_le_u32_e32 vcc, v44, v26
	;; [unrolled: 5-line block ×4, first 2 shown]
	s_waitcnt lgkmcnt(0)
	v_cndmask_b32_e32 v26, 0, v27, vcc
	v_add3_u32 v22, v26, v19, v22
.LBB70_61:                              ; =>This Loop Header: Depth=1
                                        ;     Child Loop BB70_64 Depth 2
	v_cmp_ne_u16_sdwa s[36:37], v23, v36 src0_sel:BYTE_0 src1_sel:DWORD
	v_cndmask_b32_e64 v19, 0, 1, s[36:37]
	;;#ASMSTART
	;;#ASMEND
	v_cmp_ne_u32_e32 vcc, 0, v19
	s_cmp_lg_u64 vcc, exec
	v_mov_b32_e32 v19, v22
	s_cbranch_scc1 .LBB70_66
; %bb.62:                               ;   in Loop: Header=BB70_61 Depth=1
	v_lshlrev_b64 v[22:23], 3, v[20:21]
	v_mov_b32_e32 v27, s31
	v_add_co_u32_e32 v26, vcc, s30, v22
	v_addc_co_u32_e32 v27, vcc, v27, v23, vcc
	global_load_dwordx2 v[22:23], v[26:27], off glc
	s_waitcnt vmcnt(0)
	v_cmp_eq_u16_sdwa s[38:39], v23, v21 src0_sel:BYTE_0 src1_sel:DWORD
	s_and_saveexec_b64 s[36:37], s[38:39]
	s_cbranch_execz .LBB70_60
; %bb.63:                               ;   in Loop: Header=BB70_61 Depth=1
	s_mov_b64 s[38:39], 0
.LBB70_64:                              ;   Parent Loop BB70_61 Depth=1
                                        ; =>  This Inner Loop Header: Depth=2
	global_load_dwordx2 v[22:23], v[26:27], off glc
	s_waitcnt vmcnt(0)
	v_cmp_ne_u16_sdwa s[40:41], v23, v21 src0_sel:BYTE_0 src1_sel:DWORD
	s_or_b64 s[38:39], s[40:41], s[38:39]
	s_andn2_b64 exec, exec, s[38:39]
	s_cbranch_execnz .LBB70_64
; %bb.65:                               ;   in Loop: Header=BB70_61 Depth=1
	s_or_b64 exec, exec, s[38:39]
	s_branch .LBB70_60
.LBB70_66:                              ;   in Loop: Header=BB70_61 Depth=1
                                        ; implicit-def: $vgpr22
                                        ; implicit-def: $vgpr23
	s_cbranch_execz .LBB70_61
; %bb.67:
	s_and_saveexec_b64 s[36:37], s[16:17]
	s_cbranch_execz .LBB70_69
; %bb.68:
	s_add_i32 s38, s33, 64
	s_mov_b32 s39, 0
	s_lshl_b64 s[38:39], s[38:39], 3
	s_add_u32 s38, s30, s38
	v_add_u32_e32 v20, v19, v18
	v_mov_b32_e32 v21, 2
	s_addc_u32 s39, s31, s39
	v_mov_b32_e32 v22, 0
	global_store_dwordx2 v22, v[20:21], s[38:39]
	ds_write_b64 v22, v[18:19] offset:4224
.LBB70_69:
	s_or_b64 exec, exec, s[36:37]
	s_and_b64 exec, exec, s[0:1]
	s_cbranch_execz .LBB70_71
; %bb.70:
	v_mov_b32_e32 v18, 0
	ds_write_b32 v18, v19 offset:4
.LBB70_71:
	s_or_b64 exec, exec, s[34:35]
	v_mov_b32_e32 v19, 0
	s_waitcnt lgkmcnt(0)
	s_barrier
	ds_read_b32 v20, v19 offset:4
	v_cndmask_b32_e64 v18, v35, v34, s[16:17]
	s_waitcnt lgkmcnt(0)
	s_barrier
	ds_read_b64 v[26:27], v19 offset:4224
	v_cndmask_b32_e64 v18, v18, 0, s[0:1]
	v_add_u32_e32 v24, v20, v18
	v_add_u32_sdwa v22, v24, v1 dst_sel:DWORD dst_unused:UNUSED_PAD src0_sel:DWORD src1_sel:BYTE_0
	v_add_u32_sdwa v20, v22, v1 dst_sel:DWORD dst_unused:UNUSED_PAD src0_sel:DWORD src1_sel:BYTE_1
	v_add_u32_e32 v18, v20, v30
	s_waitcnt lgkmcnt(0)
	v_readfirstlane_b32 s33, v26
	v_readfirstlane_b32 s16, v27
	s_branch .LBB70_82
.LBB70_72:
                                        ; implicit-def: $sgpr16
                                        ; implicit-def: $sgpr33
                                        ; implicit-def: $vgpr18
                                        ; implicit-def: $vgpr20
                                        ; implicit-def: $vgpr22
                                        ; implicit-def: $vgpr24
	s_cbranch_execz .LBB70_82
; %bb.73:
	s_nop 0
	v_mov_b32_dpp v18, v33 row_shr:1 row_mask:0xf bank_mask:0xf
	v_cndmask_b32_e64 v18, v18, 0, s[14:15]
	v_add_u32_e32 v18, v18, v33
	s_nop 1
	v_mov_b32_dpp v19, v18 row_shr:2 row_mask:0xf bank_mask:0xf
	v_cndmask_b32_e64 v19, 0, v19, s[12:13]
	v_add_u32_e32 v18, v18, v19
	;; [unrolled: 4-line block ×4, first 2 shown]
	s_nop 1
	v_mov_b32_dpp v19, v18 row_bcast:15 row_mask:0xf bank_mask:0xf
	v_cndmask_b32_e64 v19, v19, 0, s[6:7]
	v_add_u32_e32 v18, v18, v19
	s_nop 1
	v_mov_b32_dpp v19, v18 row_bcast:31 row_mask:0xf bank_mask:0xf
	v_cndmask_b32_e64 v19, 0, v19, s[2:3]
	v_add_u32_e32 v18, v18, v19
	s_and_saveexec_b64 s[2:3], s[4:5]
	s_cbranch_execz .LBB70_75
; %bb.74:
	v_lshlrev_b32_e32 v19, 2, v32
	ds_write_b32 v19, v18
.LBB70_75:
	s_or_b64 exec, exec, s[2:3]
	v_cmp_gt_u32_e32 vcc, 2, v0
	s_waitcnt lgkmcnt(0)
	s_barrier
	s_and_saveexec_b64 s[2:3], vcc
	s_cbranch_execz .LBB70_77
; %bb.76:
	ds_read_b32 v19, v29
	v_bfe_i32 v20, v31, 0, 1
	s_waitcnt lgkmcnt(0)
	v_mov_b32_dpp v21, v19 row_shr:1 row_mask:0xf bank_mask:0xf
	v_and_b32_e32 v20, v20, v21
	v_add_u32_e32 v19, v20, v19
	ds_write_b32 v29, v19
.LBB70_77:
	s_or_b64 exec, exec, s[2:3]
	v_cmp_lt_u32_e32 vcc, 63, v0
	v_mov_b32_e32 v20, 0
	v_mov_b32_e32 v19, 0
	s_waitcnt lgkmcnt(0)
	s_barrier
	s_and_saveexec_b64 s[2:3], vcc
	s_cbranch_execz .LBB70_79
; %bb.78:
	v_lshl_add_u32 v19, v32, 2, -4
	ds_read_b32 v19, v19
.LBB70_79:
	s_or_b64 exec, exec, s[2:3]
	v_add_u32_e32 v21, -1, v31
	v_and_b32_e32 v22, 64, v31
	v_cmp_lt_i32_e32 vcc, v21, v22
	v_cndmask_b32_e32 v21, v21, v31, vcc
	s_waitcnt lgkmcnt(0)
	v_add_u32_e32 v18, v19, v18
	v_lshlrev_b32_e32 v21, 2, v21
	ds_read_b32 v20, v20 offset:4
	ds_bpermute_b32 v18, v21, v18
	s_waitcnt lgkmcnt(1)
	v_readfirstlane_b32 s33, v20
	s_and_saveexec_b64 s[2:3], s[0:1]
	s_cbranch_execz .LBB70_81
; %bb.80:
	v_mov_b32_e32 v22, 0
	v_mov_b32_e32 v20, s33
	;; [unrolled: 1-line block ×3, first 2 shown]
	global_store_dwordx2 v22, v[20:21], s[30:31] offset:512
.LBB70_81:
	s_or_b64 exec, exec, s[2:3]
	v_cmp_eq_u32_e32 vcc, 0, v31
	s_waitcnt lgkmcnt(0)
	v_cndmask_b32_e32 v18, v18, v19, vcc
	v_cndmask_b32_e64 v24, v18, 0, s[0:1]
	v_add_u32_sdwa v22, v24, v1 dst_sel:DWORD dst_unused:UNUSED_PAD src0_sel:DWORD src1_sel:BYTE_0
	v_add_u32_sdwa v20, v22, v1 dst_sel:DWORD dst_unused:UNUSED_PAD src0_sel:DWORD src1_sel:BYTE_1
	s_mov_b32 s16, 0
	v_add_u32_e32 v18, v20, v30
	s_barrier
.LBB70_82:
	s_cmpk_lt_u32 s33, 0x81
	s_cselect_b64 s[4:5], -1, 0
	v_lshrrev_b32_e32 v26, 8, v1
	s_mov_b64 s[2:3], -1
	s_and_b64 vcc, exec, s[4:5]
	s_cbranch_vccz .LBB70_96
; %bb.83:
	s_add_i32 s6, s16, s33
	v_cmp_gt_u32_e32 vcc, s6, v24
	s_or_b64 s[8:9], s[28:29], vcc
	s_and_saveexec_b64 s[2:3], s[8:9]
	s_cbranch_execz .LBB70_86
; %bb.84:
	v_and_b32_e32 v19, 1, v1
	v_cmp_eq_u32_e32 vcc, 1, v19
	s_and_b64 exec, exec, vcc
	s_cbranch_execz .LBB70_86
; %bb.85:
	s_lshl_b64 s[8:9], s[18:19], 3
	s_add_u32 s7, s24, s8
	v_mov_b32_e32 v25, 0
	s_addc_u32 s8, s25, s9
	v_lshlrev_b64 v[30:31], 3, v[24:25]
	v_mov_b32_e32 v19, s8
	v_add_co_u32_e32 v30, vcc, s7, v30
	v_addc_co_u32_e32 v31, vcc, v19, v31, vcc
	global_store_dwordx2 v[30:31], v[14:15], off
.LBB70_86:
	s_or_b64 exec, exec, s[2:3]
	v_cmp_gt_u32_e32 vcc, s6, v22
	s_or_b64 s[8:9], s[28:29], vcc
	s_and_saveexec_b64 s[2:3], s[8:9]
	s_cbranch_execz .LBB70_89
; %bb.87:
	v_and_b32_e32 v19, 1, v26
	v_cmp_eq_u32_e32 vcc, 1, v19
	s_and_b64 exec, exec, vcc
	s_cbranch_execz .LBB70_89
; %bb.88:
	s_lshl_b64 s[8:9], s[18:19], 3
	s_add_u32 s7, s24, s8
	v_mov_b32_e32 v23, 0
	s_addc_u32 s8, s25, s9
	v_lshlrev_b64 v[30:31], 3, v[22:23]
	v_mov_b32_e32 v19, s8
	v_add_co_u32_e32 v30, vcc, s7, v30
	v_addc_co_u32_e32 v31, vcc, v19, v31, vcc
	global_store_dwordx2 v[30:31], v[16:17], off
.LBB70_89:
	s_or_b64 exec, exec, s[2:3]
	v_cmp_gt_u32_e32 vcc, s6, v20
	s_or_b64 s[8:9], s[28:29], vcc
	s_and_saveexec_b64 s[2:3], s[8:9]
	s_cbranch_execz .LBB70_92
; %bb.90:
	v_mov_b32_e32 v19, 1
	v_and_b32_sdwa v19, v19, v1 dst_sel:DWORD dst_unused:UNUSED_PAD src0_sel:DWORD src1_sel:WORD_1
	v_cmp_eq_u32_e32 vcc, 1, v19
	s_and_b64 exec, exec, vcc
	s_cbranch_execz .LBB70_92
; %bb.91:
	s_lshl_b64 s[8:9], s[18:19], 3
	s_add_u32 s7, s24, s8
	v_mov_b32_e32 v21, 0
	s_addc_u32 s8, s25, s9
	v_lshlrev_b64 v[30:31], 3, v[20:21]
	v_mov_b32_e32 v19, s8
	v_add_co_u32_e32 v30, vcc, s7, v30
	v_addc_co_u32_e32 v31, vcc, v19, v31, vcc
	global_store_dwordx2 v[30:31], v[10:11], off
.LBB70_92:
	s_or_b64 exec, exec, s[2:3]
	v_cmp_gt_u32_e32 vcc, s6, v18
	s_or_b64 s[6:7], s[28:29], vcc
	s_and_saveexec_b64 s[2:3], s[6:7]
	s_cbranch_execz .LBB70_95
; %bb.93:
	v_and_b32_e32 v19, 1, v28
	v_cmp_eq_u32_e32 vcc, 1, v19
	s_and_b64 exec, exec, vcc
	s_cbranch_execz .LBB70_95
; %bb.94:
	s_lshl_b64 s[6:7], s[18:19], 3
	s_add_u32 s6, s24, s6
	v_mov_b32_e32 v19, 0
	s_addc_u32 s7, s25, s7
	v_lshlrev_b64 v[30:31], 3, v[18:19]
	v_mov_b32_e32 v19, s7
	v_add_co_u32_e32 v30, vcc, s6, v30
	v_addc_co_u32_e32 v31, vcc, v19, v31, vcc
	global_store_dwordx2 v[30:31], v[12:13], off
.LBB70_95:
	s_or_b64 exec, exec, s[2:3]
	s_mov_b64 s[2:3], 0
.LBB70_96:
	v_and_b32_e32 v27, 1, v1
	s_and_b64 vcc, exec, s[2:3]
	v_cmp_eq_u32_e64 s[2:3], 1, v27
	s_cbranch_vccz .LBB70_109
; %bb.97:
	s_and_saveexec_b64 s[6:7], s[2:3]
	s_cbranch_execz .LBB70_99
; %bb.98:
	v_subrev_u32_e32 v19, s16, v24
	v_lshlrev_b32_e32 v19, 3, v19
	ds_write_b64 v19, v[14:15]
.LBB70_99:
	s_or_b64 exec, exec, s[6:7]
	v_and_b32_e32 v14, 1, v26
	v_cmp_eq_u32_e32 vcc, 1, v14
	s_and_saveexec_b64 s[2:3], vcc
	s_cbranch_execz .LBB70_101
; %bb.100:
	v_subrev_u32_e32 v14, s16, v22
	v_lshlrev_b32_e32 v14, 3, v14
	ds_write_b64 v14, v[16:17]
.LBB70_101:
	s_or_b64 exec, exec, s[2:3]
	v_mov_b32_e32 v14, 1
	v_and_b32_sdwa v14, v14, v1 dst_sel:DWORD dst_unused:UNUSED_PAD src0_sel:DWORD src1_sel:WORD_1
	v_cmp_eq_u32_e32 vcc, 1, v14
	s_and_saveexec_b64 s[2:3], vcc
	s_cbranch_execz .LBB70_103
; %bb.102:
	v_subrev_u32_e32 v14, s16, v20
	v_lshlrev_b32_e32 v14, 3, v14
	ds_write_b64 v14, v[10:11]
.LBB70_103:
	s_or_b64 exec, exec, s[2:3]
	v_and_b32_e32 v10, 1, v28
	v_cmp_eq_u32_e32 vcc, 1, v10
	s_and_saveexec_b64 s[2:3], vcc
	s_cbranch_execz .LBB70_105
; %bb.104:
	v_subrev_u32_e32 v10, s16, v18
	v_lshlrev_b32_e32 v10, 3, v10
	ds_write_b64 v10, v[12:13]
.LBB70_105:
	s_or_b64 exec, exec, s[2:3]
	v_cmp_gt_u32_e32 vcc, s33, v0
	s_waitcnt lgkmcnt(0)
	s_barrier
	s_and_saveexec_b64 s[2:3], vcc
	s_cbranch_execz .LBB70_108
; %bb.106:
	s_mov_b32 s17, 0
	s_lshl_b64 s[6:7], s[16:17], 3
	s_add_u32 s8, s24, s6
	s_addc_u32 s9, s25, s7
	s_lshl_b64 s[6:7], s[18:19], 3
	s_add_u32 s8, s8, s6
	s_addc_u32 s9, s9, s7
	v_lshlrev_b32_e32 v12, 3, v0
	s_mov_b64 s[6:7], 0
	v_mov_b32_e32 v11, 0
	v_mov_b32_e32 v13, s9
	;; [unrolled: 1-line block ×3, first 2 shown]
.LBB70_107:                             ; =>This Inner Loop Header: Depth=1
	ds_read_b64 v[14:15], v12
	v_lshlrev_b64 v[16:17], 3, v[10:11]
	v_add_co_u32_e32 v16, vcc, s8, v16
	v_add_u32_e32 v10, 0x80, v10
	v_addc_co_u32_e32 v17, vcc, v13, v17, vcc
	v_cmp_le_u32_e32 vcc, s33, v10
	v_add_u32_e32 v12, 0x400, v12
	s_or_b64 s[6:7], vcc, s[6:7]
	s_waitcnt lgkmcnt(0)
	global_store_dwordx2 v[16:17], v[14:15], off
	s_andn2_b64 exec, exec, s[6:7]
	s_cbranch_execnz .LBB70_107
.LBB70_108:
	s_or_b64 exec, exec, s[2:3]
.LBB70_109:
	s_mov_b64 s[2:3], -1
	s_and_b64 vcc, exec, s[4:5]
	s_barrier
	s_cbranch_vccnz .LBB70_113
; %bb.110:
	s_and_b64 vcc, exec, s[2:3]
	s_cbranch_vccnz .LBB70_126
.LBB70_111:
	s_and_b64 s[0:1], s[0:1], s[22:23]
	s_and_saveexec_b64 s[2:3], s[0:1]
	s_cbranch_execnz .LBB70_138
.LBB70_112:
	s_endpgm
.LBB70_113:
	s_add_i32 s4, s16, s33
	v_cmp_gt_u32_e32 vcc, s4, v24
	s_or_b64 s[6:7], s[28:29], vcc
	s_and_saveexec_b64 s[2:3], s[6:7]
	s_cbranch_execz .LBB70_116
; %bb.114:
	v_cmp_eq_u32_e32 vcc, 1, v27
	s_and_b64 exec, exec, vcc
	s_cbranch_execz .LBB70_116
; %bb.115:
	s_lshl_b64 s[6:7], s[18:19], 3
	s_add_u32 s5, s26, s6
	v_mov_b32_e32 v25, 0
	s_addc_u32 s6, s27, s7
	v_lshlrev_b64 v[10:11], 3, v[24:25]
	v_mov_b32_e32 v12, s6
	v_add_co_u32_e32 v10, vcc, s5, v10
	v_addc_co_u32_e32 v11, vcc, v12, v11, vcc
	global_store_dwordx2 v[10:11], v[6:7], off
.LBB70_116:
	s_or_b64 exec, exec, s[2:3]
	v_cmp_gt_u32_e32 vcc, s4, v22
	s_or_b64 s[6:7], s[28:29], vcc
	s_and_saveexec_b64 s[2:3], s[6:7]
	s_cbranch_execz .LBB70_119
; %bb.117:
	v_and_b32_e32 v10, 1, v26
	v_cmp_eq_u32_e32 vcc, 1, v10
	s_and_b64 exec, exec, vcc
	s_cbranch_execz .LBB70_119
; %bb.118:
	s_lshl_b64 s[6:7], s[18:19], 3
	s_add_u32 s5, s26, s6
	v_mov_b32_e32 v23, 0
	s_addc_u32 s6, s27, s7
	v_lshlrev_b64 v[10:11], 3, v[22:23]
	v_mov_b32_e32 v12, s6
	v_add_co_u32_e32 v10, vcc, s5, v10
	v_addc_co_u32_e32 v11, vcc, v12, v11, vcc
	global_store_dwordx2 v[10:11], v[8:9], off
.LBB70_119:
	s_or_b64 exec, exec, s[2:3]
	v_cmp_gt_u32_e32 vcc, s4, v20
	s_or_b64 s[6:7], s[28:29], vcc
	s_and_saveexec_b64 s[2:3], s[6:7]
	s_cbranch_execz .LBB70_122
; %bb.120:
	v_mov_b32_e32 v10, 1
	v_and_b32_sdwa v10, v10, v1 dst_sel:DWORD dst_unused:UNUSED_PAD src0_sel:DWORD src1_sel:WORD_1
	v_cmp_eq_u32_e32 vcc, 1, v10
	s_and_b64 exec, exec, vcc
	s_cbranch_execz .LBB70_122
; %bb.121:
	s_lshl_b64 s[6:7], s[18:19], 3
	s_add_u32 s5, s26, s6
	v_mov_b32_e32 v21, 0
	s_addc_u32 s6, s27, s7
	v_lshlrev_b64 v[10:11], 3, v[20:21]
	v_mov_b32_e32 v12, s6
	v_add_co_u32_e32 v10, vcc, s5, v10
	v_addc_co_u32_e32 v11, vcc, v12, v11, vcc
	global_store_dwordx2 v[10:11], v[2:3], off
.LBB70_122:
	s_or_b64 exec, exec, s[2:3]
	v_cmp_gt_u32_e32 vcc, s4, v18
	s_or_b64 s[4:5], s[28:29], vcc
	s_and_saveexec_b64 s[2:3], s[4:5]
	s_cbranch_execz .LBB70_125
; %bb.123:
	v_and_b32_e32 v10, 1, v28
	v_cmp_eq_u32_e32 vcc, 1, v10
	s_and_b64 exec, exec, vcc
	s_cbranch_execz .LBB70_125
; %bb.124:
	s_lshl_b64 s[4:5], s[18:19], 3
	s_add_u32 s4, s26, s4
	v_mov_b32_e32 v19, 0
	s_addc_u32 s5, s27, s5
	v_lshlrev_b64 v[10:11], 3, v[18:19]
	v_mov_b32_e32 v12, s5
	v_add_co_u32_e32 v10, vcc, s4, v10
	v_addc_co_u32_e32 v11, vcc, v12, v11, vcc
	global_store_dwordx2 v[10:11], v[4:5], off
.LBB70_125:
	s_or_b64 exec, exec, s[2:3]
	s_branch .LBB70_111
.LBB70_126:
	v_cmp_eq_u32_e32 vcc, 1, v27
	s_and_saveexec_b64 s[2:3], vcc
	s_cbranch_execz .LBB70_128
; %bb.127:
	v_subrev_u32_e32 v10, s16, v24
	v_lshlrev_b32_e32 v10, 3, v10
	ds_write_b64 v10, v[6:7]
.LBB70_128:
	s_or_b64 exec, exec, s[2:3]
	v_and_b32_e32 v6, 1, v26
	v_cmp_eq_u32_e32 vcc, 1, v6
	s_and_saveexec_b64 s[2:3], vcc
	s_cbranch_execz .LBB70_130
; %bb.129:
	v_subrev_u32_e32 v6, s16, v22
	v_lshlrev_b32_e32 v6, 3, v6
	ds_write_b64 v6, v[8:9]
.LBB70_130:
	s_or_b64 exec, exec, s[2:3]
	v_mov_b32_e32 v6, 1
	v_and_b32_sdwa v1, v6, v1 dst_sel:DWORD dst_unused:UNUSED_PAD src0_sel:DWORD src1_sel:WORD_1
	v_cmp_eq_u32_e32 vcc, 1, v1
	s_and_saveexec_b64 s[2:3], vcc
	s_cbranch_execz .LBB70_132
; %bb.131:
	v_subrev_u32_e32 v1, s16, v20
	v_lshlrev_b32_e32 v1, 3, v1
	ds_write_b64 v1, v[2:3]
.LBB70_132:
	s_or_b64 exec, exec, s[2:3]
	v_and_b32_e32 v1, 1, v28
	v_cmp_eq_u32_e32 vcc, 1, v1
	s_and_saveexec_b64 s[2:3], vcc
	s_cbranch_execz .LBB70_134
; %bb.133:
	v_subrev_u32_e32 v1, s16, v18
	v_lshlrev_b32_e32 v1, 3, v1
	ds_write_b64 v1, v[4:5]
.LBB70_134:
	s_or_b64 exec, exec, s[2:3]
	v_cmp_gt_u32_e32 vcc, s33, v0
	s_waitcnt lgkmcnt(0)
	s_barrier
	s_and_saveexec_b64 s[2:3], vcc
	s_cbranch_execz .LBB70_137
; %bb.135:
	s_mov_b32 s17, 0
	s_lshl_b64 s[4:5], s[16:17], 3
	s_add_u32 s6, s26, s4
	s_addc_u32 s7, s27, s5
	s_lshl_b64 s[4:5], s[18:19], 3
	s_add_u32 s6, s6, s4
	s_addc_u32 s7, s7, s5
	v_lshlrev_b32_e32 v2, 3, v0
	s_mov_b64 s[4:5], 0
	v_mov_b32_e32 v1, 0
	v_mov_b32_e32 v3, s7
.LBB70_136:                             ; =>This Inner Loop Header: Depth=1
	ds_read_b64 v[4:5], v2
	v_lshlrev_b64 v[6:7], 3, v[0:1]
	v_add_co_u32_e32 v6, vcc, s6, v6
	v_add_u32_e32 v0, 0x80, v0
	v_addc_co_u32_e32 v7, vcc, v3, v7, vcc
	v_cmp_le_u32_e32 vcc, s33, v0
	v_add_u32_e32 v2, 0x400, v2
	s_or_b64 s[4:5], vcc, s[4:5]
	s_waitcnt lgkmcnt(0)
	global_store_dwordx2 v[6:7], v[4:5], off
	s_andn2_b64 exec, exec, s[4:5]
	s_cbranch_execnz .LBB70_136
.LBB70_137:
	s_or_b64 exec, exec, s[2:3]
	s_and_b64 s[0:1], s[0:1], s[22:23]
	s_and_saveexec_b64 s[2:3], s[0:1]
	s_cbranch_execz .LBB70_112
.LBB70_138:
	s_add_u32 s0, s18, s33
	s_addc_u32 s1, s19, 0
	s_add_u32 s0, s0, s16
	s_addc_u32 s1, s1, 0
	v_mov_b32_e32 v2, 0
	v_pk_mov_b32 v[0:1], s[0:1], s[0:1] op_sel:[0,1]
	global_store_dwordx2 v2, v[0:1], s[20:21]
	s_endpgm
	.section	.rodata,"a",@progbits
	.p2align	6, 0x0
	.amdhsa_kernel _ZN7rocprim17ROCPRIM_400000_NS6detail17trampoline_kernelINS0_14default_configENS1_25partition_config_selectorILNS1_17partition_subalgoE9EllbEEZZNS1_14partition_implILS5_9ELb0ES3_jPKlN6thrust23THRUST_200600_302600_NS17counting_iteratorIlNSB_11use_defaultESD_SD_EEPNS0_10empty_typeENS0_5tupleIJPlSF_EEENSH_IJSI_SG_EEENS0_18inequality_wrapperIN6hipcub16HIPCUB_304000_NS8EqualityEEESI_JSF_EEE10hipError_tPvRmT3_T4_T5_T6_T7_T9_mT8_P12ihipStream_tbDpT10_ENKUlT_T0_E_clISt17integral_constantIbLb0EES18_IbLb1EEEEDaS14_S15_EUlS14_E_NS1_11comp_targetILNS1_3genE4ELNS1_11target_archE910ELNS1_3gpuE8ELNS1_3repE0EEENS1_30default_config_static_selectorELNS0_4arch9wavefront6targetE1EEEvT1_
		.amdhsa_group_segment_fixed_size 4232
		.amdhsa_private_segment_fixed_size 0
		.amdhsa_kernarg_size 128
		.amdhsa_user_sgpr_count 6
		.amdhsa_user_sgpr_private_segment_buffer 1
		.amdhsa_user_sgpr_dispatch_ptr 0
		.amdhsa_user_sgpr_queue_ptr 0
		.amdhsa_user_sgpr_kernarg_segment_ptr 1
		.amdhsa_user_sgpr_dispatch_id 0
		.amdhsa_user_sgpr_flat_scratch_init 0
		.amdhsa_user_sgpr_kernarg_preload_length 0
		.amdhsa_user_sgpr_kernarg_preload_offset 0
		.amdhsa_user_sgpr_private_segment_size 0
		.amdhsa_uses_dynamic_stack 0
		.amdhsa_system_sgpr_private_segment_wavefront_offset 0
		.amdhsa_system_sgpr_workgroup_id_x 1
		.amdhsa_system_sgpr_workgroup_id_y 0
		.amdhsa_system_sgpr_workgroup_id_z 0
		.amdhsa_system_sgpr_workgroup_info 0
		.amdhsa_system_vgpr_workitem_id 0
		.amdhsa_next_free_vgpr 50
		.amdhsa_next_free_sgpr 42
		.amdhsa_accum_offset 52
		.amdhsa_reserve_vcc 1
		.amdhsa_reserve_flat_scratch 0
		.amdhsa_float_round_mode_32 0
		.amdhsa_float_round_mode_16_64 0
		.amdhsa_float_denorm_mode_32 3
		.amdhsa_float_denorm_mode_16_64 3
		.amdhsa_dx10_clamp 1
		.amdhsa_ieee_mode 1
		.amdhsa_fp16_overflow 0
		.amdhsa_tg_split 0
		.amdhsa_exception_fp_ieee_invalid_op 0
		.amdhsa_exception_fp_denorm_src 0
		.amdhsa_exception_fp_ieee_div_zero 0
		.amdhsa_exception_fp_ieee_overflow 0
		.amdhsa_exception_fp_ieee_underflow 0
		.amdhsa_exception_fp_ieee_inexact 0
		.amdhsa_exception_int_div_zero 0
	.end_amdhsa_kernel
	.section	.text._ZN7rocprim17ROCPRIM_400000_NS6detail17trampoline_kernelINS0_14default_configENS1_25partition_config_selectorILNS1_17partition_subalgoE9EllbEEZZNS1_14partition_implILS5_9ELb0ES3_jPKlN6thrust23THRUST_200600_302600_NS17counting_iteratorIlNSB_11use_defaultESD_SD_EEPNS0_10empty_typeENS0_5tupleIJPlSF_EEENSH_IJSI_SG_EEENS0_18inequality_wrapperIN6hipcub16HIPCUB_304000_NS8EqualityEEESI_JSF_EEE10hipError_tPvRmT3_T4_T5_T6_T7_T9_mT8_P12ihipStream_tbDpT10_ENKUlT_T0_E_clISt17integral_constantIbLb0EES18_IbLb1EEEEDaS14_S15_EUlS14_E_NS1_11comp_targetILNS1_3genE4ELNS1_11target_archE910ELNS1_3gpuE8ELNS1_3repE0EEENS1_30default_config_static_selectorELNS0_4arch9wavefront6targetE1EEEvT1_,"axG",@progbits,_ZN7rocprim17ROCPRIM_400000_NS6detail17trampoline_kernelINS0_14default_configENS1_25partition_config_selectorILNS1_17partition_subalgoE9EllbEEZZNS1_14partition_implILS5_9ELb0ES3_jPKlN6thrust23THRUST_200600_302600_NS17counting_iteratorIlNSB_11use_defaultESD_SD_EEPNS0_10empty_typeENS0_5tupleIJPlSF_EEENSH_IJSI_SG_EEENS0_18inequality_wrapperIN6hipcub16HIPCUB_304000_NS8EqualityEEESI_JSF_EEE10hipError_tPvRmT3_T4_T5_T6_T7_T9_mT8_P12ihipStream_tbDpT10_ENKUlT_T0_E_clISt17integral_constantIbLb0EES18_IbLb1EEEEDaS14_S15_EUlS14_E_NS1_11comp_targetILNS1_3genE4ELNS1_11target_archE910ELNS1_3gpuE8ELNS1_3repE0EEENS1_30default_config_static_selectorELNS0_4arch9wavefront6targetE1EEEvT1_,comdat
.Lfunc_end70:
	.size	_ZN7rocprim17ROCPRIM_400000_NS6detail17trampoline_kernelINS0_14default_configENS1_25partition_config_selectorILNS1_17partition_subalgoE9EllbEEZZNS1_14partition_implILS5_9ELb0ES3_jPKlN6thrust23THRUST_200600_302600_NS17counting_iteratorIlNSB_11use_defaultESD_SD_EEPNS0_10empty_typeENS0_5tupleIJPlSF_EEENSH_IJSI_SG_EEENS0_18inequality_wrapperIN6hipcub16HIPCUB_304000_NS8EqualityEEESI_JSF_EEE10hipError_tPvRmT3_T4_T5_T6_T7_T9_mT8_P12ihipStream_tbDpT10_ENKUlT_T0_E_clISt17integral_constantIbLb0EES18_IbLb1EEEEDaS14_S15_EUlS14_E_NS1_11comp_targetILNS1_3genE4ELNS1_11target_archE910ELNS1_3gpuE8ELNS1_3repE0EEENS1_30default_config_static_selectorELNS0_4arch9wavefront6targetE1EEEvT1_, .Lfunc_end70-_ZN7rocprim17ROCPRIM_400000_NS6detail17trampoline_kernelINS0_14default_configENS1_25partition_config_selectorILNS1_17partition_subalgoE9EllbEEZZNS1_14partition_implILS5_9ELb0ES3_jPKlN6thrust23THRUST_200600_302600_NS17counting_iteratorIlNSB_11use_defaultESD_SD_EEPNS0_10empty_typeENS0_5tupleIJPlSF_EEENSH_IJSI_SG_EEENS0_18inequality_wrapperIN6hipcub16HIPCUB_304000_NS8EqualityEEESI_JSF_EEE10hipError_tPvRmT3_T4_T5_T6_T7_T9_mT8_P12ihipStream_tbDpT10_ENKUlT_T0_E_clISt17integral_constantIbLb0EES18_IbLb1EEEEDaS14_S15_EUlS14_E_NS1_11comp_targetILNS1_3genE4ELNS1_11target_archE910ELNS1_3gpuE8ELNS1_3repE0EEENS1_30default_config_static_selectorELNS0_4arch9wavefront6targetE1EEEvT1_
                                        ; -- End function
	.section	.AMDGPU.csdata,"",@progbits
; Kernel info:
; codeLenInByte = 5336
; NumSgprs: 46
; NumVgprs: 50
; NumAgprs: 0
; TotalNumVgprs: 50
; ScratchSize: 0
; MemoryBound: 0
; FloatMode: 240
; IeeeMode: 1
; LDSByteSize: 4232 bytes/workgroup (compile time only)
; SGPRBlocks: 5
; VGPRBlocks: 6
; NumSGPRsForWavesPerEU: 46
; NumVGPRsForWavesPerEU: 50
; AccumOffset: 52
; Occupancy: 8
; WaveLimiterHint : 1
; COMPUTE_PGM_RSRC2:SCRATCH_EN: 0
; COMPUTE_PGM_RSRC2:USER_SGPR: 6
; COMPUTE_PGM_RSRC2:TRAP_HANDLER: 0
; COMPUTE_PGM_RSRC2:TGID_X_EN: 1
; COMPUTE_PGM_RSRC2:TGID_Y_EN: 0
; COMPUTE_PGM_RSRC2:TGID_Z_EN: 0
; COMPUTE_PGM_RSRC2:TIDIG_COMP_CNT: 0
; COMPUTE_PGM_RSRC3_GFX90A:ACCUM_OFFSET: 12
; COMPUTE_PGM_RSRC3_GFX90A:TG_SPLIT: 0
	.section	.text._ZN7rocprim17ROCPRIM_400000_NS6detail17trampoline_kernelINS0_14default_configENS1_25partition_config_selectorILNS1_17partition_subalgoE9EllbEEZZNS1_14partition_implILS5_9ELb0ES3_jPKlN6thrust23THRUST_200600_302600_NS17counting_iteratorIlNSB_11use_defaultESD_SD_EEPNS0_10empty_typeENS0_5tupleIJPlSF_EEENSH_IJSI_SG_EEENS0_18inequality_wrapperIN6hipcub16HIPCUB_304000_NS8EqualityEEESI_JSF_EEE10hipError_tPvRmT3_T4_T5_T6_T7_T9_mT8_P12ihipStream_tbDpT10_ENKUlT_T0_E_clISt17integral_constantIbLb0EES18_IbLb1EEEEDaS14_S15_EUlS14_E_NS1_11comp_targetILNS1_3genE3ELNS1_11target_archE908ELNS1_3gpuE7ELNS1_3repE0EEENS1_30default_config_static_selectorELNS0_4arch9wavefront6targetE1EEEvT1_,"axG",@progbits,_ZN7rocprim17ROCPRIM_400000_NS6detail17trampoline_kernelINS0_14default_configENS1_25partition_config_selectorILNS1_17partition_subalgoE9EllbEEZZNS1_14partition_implILS5_9ELb0ES3_jPKlN6thrust23THRUST_200600_302600_NS17counting_iteratorIlNSB_11use_defaultESD_SD_EEPNS0_10empty_typeENS0_5tupleIJPlSF_EEENSH_IJSI_SG_EEENS0_18inequality_wrapperIN6hipcub16HIPCUB_304000_NS8EqualityEEESI_JSF_EEE10hipError_tPvRmT3_T4_T5_T6_T7_T9_mT8_P12ihipStream_tbDpT10_ENKUlT_T0_E_clISt17integral_constantIbLb0EES18_IbLb1EEEEDaS14_S15_EUlS14_E_NS1_11comp_targetILNS1_3genE3ELNS1_11target_archE908ELNS1_3gpuE7ELNS1_3repE0EEENS1_30default_config_static_selectorELNS0_4arch9wavefront6targetE1EEEvT1_,comdat
	.protected	_ZN7rocprim17ROCPRIM_400000_NS6detail17trampoline_kernelINS0_14default_configENS1_25partition_config_selectorILNS1_17partition_subalgoE9EllbEEZZNS1_14partition_implILS5_9ELb0ES3_jPKlN6thrust23THRUST_200600_302600_NS17counting_iteratorIlNSB_11use_defaultESD_SD_EEPNS0_10empty_typeENS0_5tupleIJPlSF_EEENSH_IJSI_SG_EEENS0_18inequality_wrapperIN6hipcub16HIPCUB_304000_NS8EqualityEEESI_JSF_EEE10hipError_tPvRmT3_T4_T5_T6_T7_T9_mT8_P12ihipStream_tbDpT10_ENKUlT_T0_E_clISt17integral_constantIbLb0EES18_IbLb1EEEEDaS14_S15_EUlS14_E_NS1_11comp_targetILNS1_3genE3ELNS1_11target_archE908ELNS1_3gpuE7ELNS1_3repE0EEENS1_30default_config_static_selectorELNS0_4arch9wavefront6targetE1EEEvT1_ ; -- Begin function _ZN7rocprim17ROCPRIM_400000_NS6detail17trampoline_kernelINS0_14default_configENS1_25partition_config_selectorILNS1_17partition_subalgoE9EllbEEZZNS1_14partition_implILS5_9ELb0ES3_jPKlN6thrust23THRUST_200600_302600_NS17counting_iteratorIlNSB_11use_defaultESD_SD_EEPNS0_10empty_typeENS0_5tupleIJPlSF_EEENSH_IJSI_SG_EEENS0_18inequality_wrapperIN6hipcub16HIPCUB_304000_NS8EqualityEEESI_JSF_EEE10hipError_tPvRmT3_T4_T5_T6_T7_T9_mT8_P12ihipStream_tbDpT10_ENKUlT_T0_E_clISt17integral_constantIbLb0EES18_IbLb1EEEEDaS14_S15_EUlS14_E_NS1_11comp_targetILNS1_3genE3ELNS1_11target_archE908ELNS1_3gpuE7ELNS1_3repE0EEENS1_30default_config_static_selectorELNS0_4arch9wavefront6targetE1EEEvT1_
	.globl	_ZN7rocprim17ROCPRIM_400000_NS6detail17trampoline_kernelINS0_14default_configENS1_25partition_config_selectorILNS1_17partition_subalgoE9EllbEEZZNS1_14partition_implILS5_9ELb0ES3_jPKlN6thrust23THRUST_200600_302600_NS17counting_iteratorIlNSB_11use_defaultESD_SD_EEPNS0_10empty_typeENS0_5tupleIJPlSF_EEENSH_IJSI_SG_EEENS0_18inequality_wrapperIN6hipcub16HIPCUB_304000_NS8EqualityEEESI_JSF_EEE10hipError_tPvRmT3_T4_T5_T6_T7_T9_mT8_P12ihipStream_tbDpT10_ENKUlT_T0_E_clISt17integral_constantIbLb0EES18_IbLb1EEEEDaS14_S15_EUlS14_E_NS1_11comp_targetILNS1_3genE3ELNS1_11target_archE908ELNS1_3gpuE7ELNS1_3repE0EEENS1_30default_config_static_selectorELNS0_4arch9wavefront6targetE1EEEvT1_
	.p2align	8
	.type	_ZN7rocprim17ROCPRIM_400000_NS6detail17trampoline_kernelINS0_14default_configENS1_25partition_config_selectorILNS1_17partition_subalgoE9EllbEEZZNS1_14partition_implILS5_9ELb0ES3_jPKlN6thrust23THRUST_200600_302600_NS17counting_iteratorIlNSB_11use_defaultESD_SD_EEPNS0_10empty_typeENS0_5tupleIJPlSF_EEENSH_IJSI_SG_EEENS0_18inequality_wrapperIN6hipcub16HIPCUB_304000_NS8EqualityEEESI_JSF_EEE10hipError_tPvRmT3_T4_T5_T6_T7_T9_mT8_P12ihipStream_tbDpT10_ENKUlT_T0_E_clISt17integral_constantIbLb0EES18_IbLb1EEEEDaS14_S15_EUlS14_E_NS1_11comp_targetILNS1_3genE3ELNS1_11target_archE908ELNS1_3gpuE7ELNS1_3repE0EEENS1_30default_config_static_selectorELNS0_4arch9wavefront6targetE1EEEvT1_,@function
_ZN7rocprim17ROCPRIM_400000_NS6detail17trampoline_kernelINS0_14default_configENS1_25partition_config_selectorILNS1_17partition_subalgoE9EllbEEZZNS1_14partition_implILS5_9ELb0ES3_jPKlN6thrust23THRUST_200600_302600_NS17counting_iteratorIlNSB_11use_defaultESD_SD_EEPNS0_10empty_typeENS0_5tupleIJPlSF_EEENSH_IJSI_SG_EEENS0_18inequality_wrapperIN6hipcub16HIPCUB_304000_NS8EqualityEEESI_JSF_EEE10hipError_tPvRmT3_T4_T5_T6_T7_T9_mT8_P12ihipStream_tbDpT10_ENKUlT_T0_E_clISt17integral_constantIbLb0EES18_IbLb1EEEEDaS14_S15_EUlS14_E_NS1_11comp_targetILNS1_3genE3ELNS1_11target_archE908ELNS1_3gpuE7ELNS1_3repE0EEENS1_30default_config_static_selectorELNS0_4arch9wavefront6targetE1EEEvT1_: ; @_ZN7rocprim17ROCPRIM_400000_NS6detail17trampoline_kernelINS0_14default_configENS1_25partition_config_selectorILNS1_17partition_subalgoE9EllbEEZZNS1_14partition_implILS5_9ELb0ES3_jPKlN6thrust23THRUST_200600_302600_NS17counting_iteratorIlNSB_11use_defaultESD_SD_EEPNS0_10empty_typeENS0_5tupleIJPlSF_EEENSH_IJSI_SG_EEENS0_18inequality_wrapperIN6hipcub16HIPCUB_304000_NS8EqualityEEESI_JSF_EEE10hipError_tPvRmT3_T4_T5_T6_T7_T9_mT8_P12ihipStream_tbDpT10_ENKUlT_T0_E_clISt17integral_constantIbLb0EES18_IbLb1EEEEDaS14_S15_EUlS14_E_NS1_11comp_targetILNS1_3genE3ELNS1_11target_archE908ELNS1_3gpuE7ELNS1_3repE0EEENS1_30default_config_static_selectorELNS0_4arch9wavefront6targetE1EEEvT1_
; %bb.0:
	.section	.rodata,"a",@progbits
	.p2align	6, 0x0
	.amdhsa_kernel _ZN7rocprim17ROCPRIM_400000_NS6detail17trampoline_kernelINS0_14default_configENS1_25partition_config_selectorILNS1_17partition_subalgoE9EllbEEZZNS1_14partition_implILS5_9ELb0ES3_jPKlN6thrust23THRUST_200600_302600_NS17counting_iteratorIlNSB_11use_defaultESD_SD_EEPNS0_10empty_typeENS0_5tupleIJPlSF_EEENSH_IJSI_SG_EEENS0_18inequality_wrapperIN6hipcub16HIPCUB_304000_NS8EqualityEEESI_JSF_EEE10hipError_tPvRmT3_T4_T5_T6_T7_T9_mT8_P12ihipStream_tbDpT10_ENKUlT_T0_E_clISt17integral_constantIbLb0EES18_IbLb1EEEEDaS14_S15_EUlS14_E_NS1_11comp_targetILNS1_3genE3ELNS1_11target_archE908ELNS1_3gpuE7ELNS1_3repE0EEENS1_30default_config_static_selectorELNS0_4arch9wavefront6targetE1EEEvT1_
		.amdhsa_group_segment_fixed_size 0
		.amdhsa_private_segment_fixed_size 0
		.amdhsa_kernarg_size 128
		.amdhsa_user_sgpr_count 6
		.amdhsa_user_sgpr_private_segment_buffer 1
		.amdhsa_user_sgpr_dispatch_ptr 0
		.amdhsa_user_sgpr_queue_ptr 0
		.amdhsa_user_sgpr_kernarg_segment_ptr 1
		.amdhsa_user_sgpr_dispatch_id 0
		.amdhsa_user_sgpr_flat_scratch_init 0
		.amdhsa_user_sgpr_kernarg_preload_length 0
		.amdhsa_user_sgpr_kernarg_preload_offset 0
		.amdhsa_user_sgpr_private_segment_size 0
		.amdhsa_uses_dynamic_stack 0
		.amdhsa_system_sgpr_private_segment_wavefront_offset 0
		.amdhsa_system_sgpr_workgroup_id_x 1
		.amdhsa_system_sgpr_workgroup_id_y 0
		.amdhsa_system_sgpr_workgroup_id_z 0
		.amdhsa_system_sgpr_workgroup_info 0
		.amdhsa_system_vgpr_workitem_id 0
		.amdhsa_next_free_vgpr 1
		.amdhsa_next_free_sgpr 0
		.amdhsa_accum_offset 4
		.amdhsa_reserve_vcc 0
		.amdhsa_reserve_flat_scratch 0
		.amdhsa_float_round_mode_32 0
		.amdhsa_float_round_mode_16_64 0
		.amdhsa_float_denorm_mode_32 3
		.amdhsa_float_denorm_mode_16_64 3
		.amdhsa_dx10_clamp 1
		.amdhsa_ieee_mode 1
		.amdhsa_fp16_overflow 0
		.amdhsa_tg_split 0
		.amdhsa_exception_fp_ieee_invalid_op 0
		.amdhsa_exception_fp_denorm_src 0
		.amdhsa_exception_fp_ieee_div_zero 0
		.amdhsa_exception_fp_ieee_overflow 0
		.amdhsa_exception_fp_ieee_underflow 0
		.amdhsa_exception_fp_ieee_inexact 0
		.amdhsa_exception_int_div_zero 0
	.end_amdhsa_kernel
	.section	.text._ZN7rocprim17ROCPRIM_400000_NS6detail17trampoline_kernelINS0_14default_configENS1_25partition_config_selectorILNS1_17partition_subalgoE9EllbEEZZNS1_14partition_implILS5_9ELb0ES3_jPKlN6thrust23THRUST_200600_302600_NS17counting_iteratorIlNSB_11use_defaultESD_SD_EEPNS0_10empty_typeENS0_5tupleIJPlSF_EEENSH_IJSI_SG_EEENS0_18inequality_wrapperIN6hipcub16HIPCUB_304000_NS8EqualityEEESI_JSF_EEE10hipError_tPvRmT3_T4_T5_T6_T7_T9_mT8_P12ihipStream_tbDpT10_ENKUlT_T0_E_clISt17integral_constantIbLb0EES18_IbLb1EEEEDaS14_S15_EUlS14_E_NS1_11comp_targetILNS1_3genE3ELNS1_11target_archE908ELNS1_3gpuE7ELNS1_3repE0EEENS1_30default_config_static_selectorELNS0_4arch9wavefront6targetE1EEEvT1_,"axG",@progbits,_ZN7rocprim17ROCPRIM_400000_NS6detail17trampoline_kernelINS0_14default_configENS1_25partition_config_selectorILNS1_17partition_subalgoE9EllbEEZZNS1_14partition_implILS5_9ELb0ES3_jPKlN6thrust23THRUST_200600_302600_NS17counting_iteratorIlNSB_11use_defaultESD_SD_EEPNS0_10empty_typeENS0_5tupleIJPlSF_EEENSH_IJSI_SG_EEENS0_18inequality_wrapperIN6hipcub16HIPCUB_304000_NS8EqualityEEESI_JSF_EEE10hipError_tPvRmT3_T4_T5_T6_T7_T9_mT8_P12ihipStream_tbDpT10_ENKUlT_T0_E_clISt17integral_constantIbLb0EES18_IbLb1EEEEDaS14_S15_EUlS14_E_NS1_11comp_targetILNS1_3genE3ELNS1_11target_archE908ELNS1_3gpuE7ELNS1_3repE0EEENS1_30default_config_static_selectorELNS0_4arch9wavefront6targetE1EEEvT1_,comdat
.Lfunc_end71:
	.size	_ZN7rocprim17ROCPRIM_400000_NS6detail17trampoline_kernelINS0_14default_configENS1_25partition_config_selectorILNS1_17partition_subalgoE9EllbEEZZNS1_14partition_implILS5_9ELb0ES3_jPKlN6thrust23THRUST_200600_302600_NS17counting_iteratorIlNSB_11use_defaultESD_SD_EEPNS0_10empty_typeENS0_5tupleIJPlSF_EEENSH_IJSI_SG_EEENS0_18inequality_wrapperIN6hipcub16HIPCUB_304000_NS8EqualityEEESI_JSF_EEE10hipError_tPvRmT3_T4_T5_T6_T7_T9_mT8_P12ihipStream_tbDpT10_ENKUlT_T0_E_clISt17integral_constantIbLb0EES18_IbLb1EEEEDaS14_S15_EUlS14_E_NS1_11comp_targetILNS1_3genE3ELNS1_11target_archE908ELNS1_3gpuE7ELNS1_3repE0EEENS1_30default_config_static_selectorELNS0_4arch9wavefront6targetE1EEEvT1_, .Lfunc_end71-_ZN7rocprim17ROCPRIM_400000_NS6detail17trampoline_kernelINS0_14default_configENS1_25partition_config_selectorILNS1_17partition_subalgoE9EllbEEZZNS1_14partition_implILS5_9ELb0ES3_jPKlN6thrust23THRUST_200600_302600_NS17counting_iteratorIlNSB_11use_defaultESD_SD_EEPNS0_10empty_typeENS0_5tupleIJPlSF_EEENSH_IJSI_SG_EEENS0_18inequality_wrapperIN6hipcub16HIPCUB_304000_NS8EqualityEEESI_JSF_EEE10hipError_tPvRmT3_T4_T5_T6_T7_T9_mT8_P12ihipStream_tbDpT10_ENKUlT_T0_E_clISt17integral_constantIbLb0EES18_IbLb1EEEEDaS14_S15_EUlS14_E_NS1_11comp_targetILNS1_3genE3ELNS1_11target_archE908ELNS1_3gpuE7ELNS1_3repE0EEENS1_30default_config_static_selectorELNS0_4arch9wavefront6targetE1EEEvT1_
                                        ; -- End function
	.section	.AMDGPU.csdata,"",@progbits
; Kernel info:
; codeLenInByte = 0
; NumSgprs: 4
; NumVgprs: 0
; NumAgprs: 0
; TotalNumVgprs: 0
; ScratchSize: 0
; MemoryBound: 0
; FloatMode: 240
; IeeeMode: 1
; LDSByteSize: 0 bytes/workgroup (compile time only)
; SGPRBlocks: 0
; VGPRBlocks: 0
; NumSGPRsForWavesPerEU: 4
; NumVGPRsForWavesPerEU: 1
; AccumOffset: 4
; Occupancy: 8
; WaveLimiterHint : 0
; COMPUTE_PGM_RSRC2:SCRATCH_EN: 0
; COMPUTE_PGM_RSRC2:USER_SGPR: 6
; COMPUTE_PGM_RSRC2:TRAP_HANDLER: 0
; COMPUTE_PGM_RSRC2:TGID_X_EN: 1
; COMPUTE_PGM_RSRC2:TGID_Y_EN: 0
; COMPUTE_PGM_RSRC2:TGID_Z_EN: 0
; COMPUTE_PGM_RSRC2:TIDIG_COMP_CNT: 0
; COMPUTE_PGM_RSRC3_GFX90A:ACCUM_OFFSET: 0
; COMPUTE_PGM_RSRC3_GFX90A:TG_SPLIT: 0
	.section	.text._ZN7rocprim17ROCPRIM_400000_NS6detail17trampoline_kernelINS0_14default_configENS1_25partition_config_selectorILNS1_17partition_subalgoE9EllbEEZZNS1_14partition_implILS5_9ELb0ES3_jPKlN6thrust23THRUST_200600_302600_NS17counting_iteratorIlNSB_11use_defaultESD_SD_EEPNS0_10empty_typeENS0_5tupleIJPlSF_EEENSH_IJSI_SG_EEENS0_18inequality_wrapperIN6hipcub16HIPCUB_304000_NS8EqualityEEESI_JSF_EEE10hipError_tPvRmT3_T4_T5_T6_T7_T9_mT8_P12ihipStream_tbDpT10_ENKUlT_T0_E_clISt17integral_constantIbLb0EES18_IbLb1EEEEDaS14_S15_EUlS14_E_NS1_11comp_targetILNS1_3genE2ELNS1_11target_archE906ELNS1_3gpuE6ELNS1_3repE0EEENS1_30default_config_static_selectorELNS0_4arch9wavefront6targetE1EEEvT1_,"axG",@progbits,_ZN7rocprim17ROCPRIM_400000_NS6detail17trampoline_kernelINS0_14default_configENS1_25partition_config_selectorILNS1_17partition_subalgoE9EllbEEZZNS1_14partition_implILS5_9ELb0ES3_jPKlN6thrust23THRUST_200600_302600_NS17counting_iteratorIlNSB_11use_defaultESD_SD_EEPNS0_10empty_typeENS0_5tupleIJPlSF_EEENSH_IJSI_SG_EEENS0_18inequality_wrapperIN6hipcub16HIPCUB_304000_NS8EqualityEEESI_JSF_EEE10hipError_tPvRmT3_T4_T5_T6_T7_T9_mT8_P12ihipStream_tbDpT10_ENKUlT_T0_E_clISt17integral_constantIbLb0EES18_IbLb1EEEEDaS14_S15_EUlS14_E_NS1_11comp_targetILNS1_3genE2ELNS1_11target_archE906ELNS1_3gpuE6ELNS1_3repE0EEENS1_30default_config_static_selectorELNS0_4arch9wavefront6targetE1EEEvT1_,comdat
	.protected	_ZN7rocprim17ROCPRIM_400000_NS6detail17trampoline_kernelINS0_14default_configENS1_25partition_config_selectorILNS1_17partition_subalgoE9EllbEEZZNS1_14partition_implILS5_9ELb0ES3_jPKlN6thrust23THRUST_200600_302600_NS17counting_iteratorIlNSB_11use_defaultESD_SD_EEPNS0_10empty_typeENS0_5tupleIJPlSF_EEENSH_IJSI_SG_EEENS0_18inequality_wrapperIN6hipcub16HIPCUB_304000_NS8EqualityEEESI_JSF_EEE10hipError_tPvRmT3_T4_T5_T6_T7_T9_mT8_P12ihipStream_tbDpT10_ENKUlT_T0_E_clISt17integral_constantIbLb0EES18_IbLb1EEEEDaS14_S15_EUlS14_E_NS1_11comp_targetILNS1_3genE2ELNS1_11target_archE906ELNS1_3gpuE6ELNS1_3repE0EEENS1_30default_config_static_selectorELNS0_4arch9wavefront6targetE1EEEvT1_ ; -- Begin function _ZN7rocprim17ROCPRIM_400000_NS6detail17trampoline_kernelINS0_14default_configENS1_25partition_config_selectorILNS1_17partition_subalgoE9EllbEEZZNS1_14partition_implILS5_9ELb0ES3_jPKlN6thrust23THRUST_200600_302600_NS17counting_iteratorIlNSB_11use_defaultESD_SD_EEPNS0_10empty_typeENS0_5tupleIJPlSF_EEENSH_IJSI_SG_EEENS0_18inequality_wrapperIN6hipcub16HIPCUB_304000_NS8EqualityEEESI_JSF_EEE10hipError_tPvRmT3_T4_T5_T6_T7_T9_mT8_P12ihipStream_tbDpT10_ENKUlT_T0_E_clISt17integral_constantIbLb0EES18_IbLb1EEEEDaS14_S15_EUlS14_E_NS1_11comp_targetILNS1_3genE2ELNS1_11target_archE906ELNS1_3gpuE6ELNS1_3repE0EEENS1_30default_config_static_selectorELNS0_4arch9wavefront6targetE1EEEvT1_
	.globl	_ZN7rocprim17ROCPRIM_400000_NS6detail17trampoline_kernelINS0_14default_configENS1_25partition_config_selectorILNS1_17partition_subalgoE9EllbEEZZNS1_14partition_implILS5_9ELb0ES3_jPKlN6thrust23THRUST_200600_302600_NS17counting_iteratorIlNSB_11use_defaultESD_SD_EEPNS0_10empty_typeENS0_5tupleIJPlSF_EEENSH_IJSI_SG_EEENS0_18inequality_wrapperIN6hipcub16HIPCUB_304000_NS8EqualityEEESI_JSF_EEE10hipError_tPvRmT3_T4_T5_T6_T7_T9_mT8_P12ihipStream_tbDpT10_ENKUlT_T0_E_clISt17integral_constantIbLb0EES18_IbLb1EEEEDaS14_S15_EUlS14_E_NS1_11comp_targetILNS1_3genE2ELNS1_11target_archE906ELNS1_3gpuE6ELNS1_3repE0EEENS1_30default_config_static_selectorELNS0_4arch9wavefront6targetE1EEEvT1_
	.p2align	8
	.type	_ZN7rocprim17ROCPRIM_400000_NS6detail17trampoline_kernelINS0_14default_configENS1_25partition_config_selectorILNS1_17partition_subalgoE9EllbEEZZNS1_14partition_implILS5_9ELb0ES3_jPKlN6thrust23THRUST_200600_302600_NS17counting_iteratorIlNSB_11use_defaultESD_SD_EEPNS0_10empty_typeENS0_5tupleIJPlSF_EEENSH_IJSI_SG_EEENS0_18inequality_wrapperIN6hipcub16HIPCUB_304000_NS8EqualityEEESI_JSF_EEE10hipError_tPvRmT3_T4_T5_T6_T7_T9_mT8_P12ihipStream_tbDpT10_ENKUlT_T0_E_clISt17integral_constantIbLb0EES18_IbLb1EEEEDaS14_S15_EUlS14_E_NS1_11comp_targetILNS1_3genE2ELNS1_11target_archE906ELNS1_3gpuE6ELNS1_3repE0EEENS1_30default_config_static_selectorELNS0_4arch9wavefront6targetE1EEEvT1_,@function
_ZN7rocprim17ROCPRIM_400000_NS6detail17trampoline_kernelINS0_14default_configENS1_25partition_config_selectorILNS1_17partition_subalgoE9EllbEEZZNS1_14partition_implILS5_9ELb0ES3_jPKlN6thrust23THRUST_200600_302600_NS17counting_iteratorIlNSB_11use_defaultESD_SD_EEPNS0_10empty_typeENS0_5tupleIJPlSF_EEENSH_IJSI_SG_EEENS0_18inequality_wrapperIN6hipcub16HIPCUB_304000_NS8EqualityEEESI_JSF_EEE10hipError_tPvRmT3_T4_T5_T6_T7_T9_mT8_P12ihipStream_tbDpT10_ENKUlT_T0_E_clISt17integral_constantIbLb0EES18_IbLb1EEEEDaS14_S15_EUlS14_E_NS1_11comp_targetILNS1_3genE2ELNS1_11target_archE906ELNS1_3gpuE6ELNS1_3repE0EEENS1_30default_config_static_selectorELNS0_4arch9wavefront6targetE1EEEvT1_: ; @_ZN7rocprim17ROCPRIM_400000_NS6detail17trampoline_kernelINS0_14default_configENS1_25partition_config_selectorILNS1_17partition_subalgoE9EllbEEZZNS1_14partition_implILS5_9ELb0ES3_jPKlN6thrust23THRUST_200600_302600_NS17counting_iteratorIlNSB_11use_defaultESD_SD_EEPNS0_10empty_typeENS0_5tupleIJPlSF_EEENSH_IJSI_SG_EEENS0_18inequality_wrapperIN6hipcub16HIPCUB_304000_NS8EqualityEEESI_JSF_EEE10hipError_tPvRmT3_T4_T5_T6_T7_T9_mT8_P12ihipStream_tbDpT10_ENKUlT_T0_E_clISt17integral_constantIbLb0EES18_IbLb1EEEEDaS14_S15_EUlS14_E_NS1_11comp_targetILNS1_3genE2ELNS1_11target_archE906ELNS1_3gpuE6ELNS1_3repE0EEENS1_30default_config_static_selectorELNS0_4arch9wavefront6targetE1EEEvT1_
; %bb.0:
	.section	.rodata,"a",@progbits
	.p2align	6, 0x0
	.amdhsa_kernel _ZN7rocprim17ROCPRIM_400000_NS6detail17trampoline_kernelINS0_14default_configENS1_25partition_config_selectorILNS1_17partition_subalgoE9EllbEEZZNS1_14partition_implILS5_9ELb0ES3_jPKlN6thrust23THRUST_200600_302600_NS17counting_iteratorIlNSB_11use_defaultESD_SD_EEPNS0_10empty_typeENS0_5tupleIJPlSF_EEENSH_IJSI_SG_EEENS0_18inequality_wrapperIN6hipcub16HIPCUB_304000_NS8EqualityEEESI_JSF_EEE10hipError_tPvRmT3_T4_T5_T6_T7_T9_mT8_P12ihipStream_tbDpT10_ENKUlT_T0_E_clISt17integral_constantIbLb0EES18_IbLb1EEEEDaS14_S15_EUlS14_E_NS1_11comp_targetILNS1_3genE2ELNS1_11target_archE906ELNS1_3gpuE6ELNS1_3repE0EEENS1_30default_config_static_selectorELNS0_4arch9wavefront6targetE1EEEvT1_
		.amdhsa_group_segment_fixed_size 0
		.amdhsa_private_segment_fixed_size 0
		.amdhsa_kernarg_size 128
		.amdhsa_user_sgpr_count 6
		.amdhsa_user_sgpr_private_segment_buffer 1
		.amdhsa_user_sgpr_dispatch_ptr 0
		.amdhsa_user_sgpr_queue_ptr 0
		.amdhsa_user_sgpr_kernarg_segment_ptr 1
		.amdhsa_user_sgpr_dispatch_id 0
		.amdhsa_user_sgpr_flat_scratch_init 0
		.amdhsa_user_sgpr_kernarg_preload_length 0
		.amdhsa_user_sgpr_kernarg_preload_offset 0
		.amdhsa_user_sgpr_private_segment_size 0
		.amdhsa_uses_dynamic_stack 0
		.amdhsa_system_sgpr_private_segment_wavefront_offset 0
		.amdhsa_system_sgpr_workgroup_id_x 1
		.amdhsa_system_sgpr_workgroup_id_y 0
		.amdhsa_system_sgpr_workgroup_id_z 0
		.amdhsa_system_sgpr_workgroup_info 0
		.amdhsa_system_vgpr_workitem_id 0
		.amdhsa_next_free_vgpr 1
		.amdhsa_next_free_sgpr 0
		.amdhsa_accum_offset 4
		.amdhsa_reserve_vcc 0
		.amdhsa_reserve_flat_scratch 0
		.amdhsa_float_round_mode_32 0
		.amdhsa_float_round_mode_16_64 0
		.amdhsa_float_denorm_mode_32 3
		.amdhsa_float_denorm_mode_16_64 3
		.amdhsa_dx10_clamp 1
		.amdhsa_ieee_mode 1
		.amdhsa_fp16_overflow 0
		.amdhsa_tg_split 0
		.amdhsa_exception_fp_ieee_invalid_op 0
		.amdhsa_exception_fp_denorm_src 0
		.amdhsa_exception_fp_ieee_div_zero 0
		.amdhsa_exception_fp_ieee_overflow 0
		.amdhsa_exception_fp_ieee_underflow 0
		.amdhsa_exception_fp_ieee_inexact 0
		.amdhsa_exception_int_div_zero 0
	.end_amdhsa_kernel
	.section	.text._ZN7rocprim17ROCPRIM_400000_NS6detail17trampoline_kernelINS0_14default_configENS1_25partition_config_selectorILNS1_17partition_subalgoE9EllbEEZZNS1_14partition_implILS5_9ELb0ES3_jPKlN6thrust23THRUST_200600_302600_NS17counting_iteratorIlNSB_11use_defaultESD_SD_EEPNS0_10empty_typeENS0_5tupleIJPlSF_EEENSH_IJSI_SG_EEENS0_18inequality_wrapperIN6hipcub16HIPCUB_304000_NS8EqualityEEESI_JSF_EEE10hipError_tPvRmT3_T4_T5_T6_T7_T9_mT8_P12ihipStream_tbDpT10_ENKUlT_T0_E_clISt17integral_constantIbLb0EES18_IbLb1EEEEDaS14_S15_EUlS14_E_NS1_11comp_targetILNS1_3genE2ELNS1_11target_archE906ELNS1_3gpuE6ELNS1_3repE0EEENS1_30default_config_static_selectorELNS0_4arch9wavefront6targetE1EEEvT1_,"axG",@progbits,_ZN7rocprim17ROCPRIM_400000_NS6detail17trampoline_kernelINS0_14default_configENS1_25partition_config_selectorILNS1_17partition_subalgoE9EllbEEZZNS1_14partition_implILS5_9ELb0ES3_jPKlN6thrust23THRUST_200600_302600_NS17counting_iteratorIlNSB_11use_defaultESD_SD_EEPNS0_10empty_typeENS0_5tupleIJPlSF_EEENSH_IJSI_SG_EEENS0_18inequality_wrapperIN6hipcub16HIPCUB_304000_NS8EqualityEEESI_JSF_EEE10hipError_tPvRmT3_T4_T5_T6_T7_T9_mT8_P12ihipStream_tbDpT10_ENKUlT_T0_E_clISt17integral_constantIbLb0EES18_IbLb1EEEEDaS14_S15_EUlS14_E_NS1_11comp_targetILNS1_3genE2ELNS1_11target_archE906ELNS1_3gpuE6ELNS1_3repE0EEENS1_30default_config_static_selectorELNS0_4arch9wavefront6targetE1EEEvT1_,comdat
.Lfunc_end72:
	.size	_ZN7rocprim17ROCPRIM_400000_NS6detail17trampoline_kernelINS0_14default_configENS1_25partition_config_selectorILNS1_17partition_subalgoE9EllbEEZZNS1_14partition_implILS5_9ELb0ES3_jPKlN6thrust23THRUST_200600_302600_NS17counting_iteratorIlNSB_11use_defaultESD_SD_EEPNS0_10empty_typeENS0_5tupleIJPlSF_EEENSH_IJSI_SG_EEENS0_18inequality_wrapperIN6hipcub16HIPCUB_304000_NS8EqualityEEESI_JSF_EEE10hipError_tPvRmT3_T4_T5_T6_T7_T9_mT8_P12ihipStream_tbDpT10_ENKUlT_T0_E_clISt17integral_constantIbLb0EES18_IbLb1EEEEDaS14_S15_EUlS14_E_NS1_11comp_targetILNS1_3genE2ELNS1_11target_archE906ELNS1_3gpuE6ELNS1_3repE0EEENS1_30default_config_static_selectorELNS0_4arch9wavefront6targetE1EEEvT1_, .Lfunc_end72-_ZN7rocprim17ROCPRIM_400000_NS6detail17trampoline_kernelINS0_14default_configENS1_25partition_config_selectorILNS1_17partition_subalgoE9EllbEEZZNS1_14partition_implILS5_9ELb0ES3_jPKlN6thrust23THRUST_200600_302600_NS17counting_iteratorIlNSB_11use_defaultESD_SD_EEPNS0_10empty_typeENS0_5tupleIJPlSF_EEENSH_IJSI_SG_EEENS0_18inequality_wrapperIN6hipcub16HIPCUB_304000_NS8EqualityEEESI_JSF_EEE10hipError_tPvRmT3_T4_T5_T6_T7_T9_mT8_P12ihipStream_tbDpT10_ENKUlT_T0_E_clISt17integral_constantIbLb0EES18_IbLb1EEEEDaS14_S15_EUlS14_E_NS1_11comp_targetILNS1_3genE2ELNS1_11target_archE906ELNS1_3gpuE6ELNS1_3repE0EEENS1_30default_config_static_selectorELNS0_4arch9wavefront6targetE1EEEvT1_
                                        ; -- End function
	.section	.AMDGPU.csdata,"",@progbits
; Kernel info:
; codeLenInByte = 0
; NumSgprs: 4
; NumVgprs: 0
; NumAgprs: 0
; TotalNumVgprs: 0
; ScratchSize: 0
; MemoryBound: 0
; FloatMode: 240
; IeeeMode: 1
; LDSByteSize: 0 bytes/workgroup (compile time only)
; SGPRBlocks: 0
; VGPRBlocks: 0
; NumSGPRsForWavesPerEU: 4
; NumVGPRsForWavesPerEU: 1
; AccumOffset: 4
; Occupancy: 8
; WaveLimiterHint : 0
; COMPUTE_PGM_RSRC2:SCRATCH_EN: 0
; COMPUTE_PGM_RSRC2:USER_SGPR: 6
; COMPUTE_PGM_RSRC2:TRAP_HANDLER: 0
; COMPUTE_PGM_RSRC2:TGID_X_EN: 1
; COMPUTE_PGM_RSRC2:TGID_Y_EN: 0
; COMPUTE_PGM_RSRC2:TGID_Z_EN: 0
; COMPUTE_PGM_RSRC2:TIDIG_COMP_CNT: 0
; COMPUTE_PGM_RSRC3_GFX90A:ACCUM_OFFSET: 0
; COMPUTE_PGM_RSRC3_GFX90A:TG_SPLIT: 0
	.section	.text._ZN7rocprim17ROCPRIM_400000_NS6detail17trampoline_kernelINS0_14default_configENS1_25partition_config_selectorILNS1_17partition_subalgoE9EllbEEZZNS1_14partition_implILS5_9ELb0ES3_jPKlN6thrust23THRUST_200600_302600_NS17counting_iteratorIlNSB_11use_defaultESD_SD_EEPNS0_10empty_typeENS0_5tupleIJPlSF_EEENSH_IJSI_SG_EEENS0_18inequality_wrapperIN6hipcub16HIPCUB_304000_NS8EqualityEEESI_JSF_EEE10hipError_tPvRmT3_T4_T5_T6_T7_T9_mT8_P12ihipStream_tbDpT10_ENKUlT_T0_E_clISt17integral_constantIbLb0EES18_IbLb1EEEEDaS14_S15_EUlS14_E_NS1_11comp_targetILNS1_3genE10ELNS1_11target_archE1200ELNS1_3gpuE4ELNS1_3repE0EEENS1_30default_config_static_selectorELNS0_4arch9wavefront6targetE1EEEvT1_,"axG",@progbits,_ZN7rocprim17ROCPRIM_400000_NS6detail17trampoline_kernelINS0_14default_configENS1_25partition_config_selectorILNS1_17partition_subalgoE9EllbEEZZNS1_14partition_implILS5_9ELb0ES3_jPKlN6thrust23THRUST_200600_302600_NS17counting_iteratorIlNSB_11use_defaultESD_SD_EEPNS0_10empty_typeENS0_5tupleIJPlSF_EEENSH_IJSI_SG_EEENS0_18inequality_wrapperIN6hipcub16HIPCUB_304000_NS8EqualityEEESI_JSF_EEE10hipError_tPvRmT3_T4_T5_T6_T7_T9_mT8_P12ihipStream_tbDpT10_ENKUlT_T0_E_clISt17integral_constantIbLb0EES18_IbLb1EEEEDaS14_S15_EUlS14_E_NS1_11comp_targetILNS1_3genE10ELNS1_11target_archE1200ELNS1_3gpuE4ELNS1_3repE0EEENS1_30default_config_static_selectorELNS0_4arch9wavefront6targetE1EEEvT1_,comdat
	.protected	_ZN7rocprim17ROCPRIM_400000_NS6detail17trampoline_kernelINS0_14default_configENS1_25partition_config_selectorILNS1_17partition_subalgoE9EllbEEZZNS1_14partition_implILS5_9ELb0ES3_jPKlN6thrust23THRUST_200600_302600_NS17counting_iteratorIlNSB_11use_defaultESD_SD_EEPNS0_10empty_typeENS0_5tupleIJPlSF_EEENSH_IJSI_SG_EEENS0_18inequality_wrapperIN6hipcub16HIPCUB_304000_NS8EqualityEEESI_JSF_EEE10hipError_tPvRmT3_T4_T5_T6_T7_T9_mT8_P12ihipStream_tbDpT10_ENKUlT_T0_E_clISt17integral_constantIbLb0EES18_IbLb1EEEEDaS14_S15_EUlS14_E_NS1_11comp_targetILNS1_3genE10ELNS1_11target_archE1200ELNS1_3gpuE4ELNS1_3repE0EEENS1_30default_config_static_selectorELNS0_4arch9wavefront6targetE1EEEvT1_ ; -- Begin function _ZN7rocprim17ROCPRIM_400000_NS6detail17trampoline_kernelINS0_14default_configENS1_25partition_config_selectorILNS1_17partition_subalgoE9EllbEEZZNS1_14partition_implILS5_9ELb0ES3_jPKlN6thrust23THRUST_200600_302600_NS17counting_iteratorIlNSB_11use_defaultESD_SD_EEPNS0_10empty_typeENS0_5tupleIJPlSF_EEENSH_IJSI_SG_EEENS0_18inequality_wrapperIN6hipcub16HIPCUB_304000_NS8EqualityEEESI_JSF_EEE10hipError_tPvRmT3_T4_T5_T6_T7_T9_mT8_P12ihipStream_tbDpT10_ENKUlT_T0_E_clISt17integral_constantIbLb0EES18_IbLb1EEEEDaS14_S15_EUlS14_E_NS1_11comp_targetILNS1_3genE10ELNS1_11target_archE1200ELNS1_3gpuE4ELNS1_3repE0EEENS1_30default_config_static_selectorELNS0_4arch9wavefront6targetE1EEEvT1_
	.globl	_ZN7rocprim17ROCPRIM_400000_NS6detail17trampoline_kernelINS0_14default_configENS1_25partition_config_selectorILNS1_17partition_subalgoE9EllbEEZZNS1_14partition_implILS5_9ELb0ES3_jPKlN6thrust23THRUST_200600_302600_NS17counting_iteratorIlNSB_11use_defaultESD_SD_EEPNS0_10empty_typeENS0_5tupleIJPlSF_EEENSH_IJSI_SG_EEENS0_18inequality_wrapperIN6hipcub16HIPCUB_304000_NS8EqualityEEESI_JSF_EEE10hipError_tPvRmT3_T4_T5_T6_T7_T9_mT8_P12ihipStream_tbDpT10_ENKUlT_T0_E_clISt17integral_constantIbLb0EES18_IbLb1EEEEDaS14_S15_EUlS14_E_NS1_11comp_targetILNS1_3genE10ELNS1_11target_archE1200ELNS1_3gpuE4ELNS1_3repE0EEENS1_30default_config_static_selectorELNS0_4arch9wavefront6targetE1EEEvT1_
	.p2align	8
	.type	_ZN7rocprim17ROCPRIM_400000_NS6detail17trampoline_kernelINS0_14default_configENS1_25partition_config_selectorILNS1_17partition_subalgoE9EllbEEZZNS1_14partition_implILS5_9ELb0ES3_jPKlN6thrust23THRUST_200600_302600_NS17counting_iteratorIlNSB_11use_defaultESD_SD_EEPNS0_10empty_typeENS0_5tupleIJPlSF_EEENSH_IJSI_SG_EEENS0_18inequality_wrapperIN6hipcub16HIPCUB_304000_NS8EqualityEEESI_JSF_EEE10hipError_tPvRmT3_T4_T5_T6_T7_T9_mT8_P12ihipStream_tbDpT10_ENKUlT_T0_E_clISt17integral_constantIbLb0EES18_IbLb1EEEEDaS14_S15_EUlS14_E_NS1_11comp_targetILNS1_3genE10ELNS1_11target_archE1200ELNS1_3gpuE4ELNS1_3repE0EEENS1_30default_config_static_selectorELNS0_4arch9wavefront6targetE1EEEvT1_,@function
_ZN7rocprim17ROCPRIM_400000_NS6detail17trampoline_kernelINS0_14default_configENS1_25partition_config_selectorILNS1_17partition_subalgoE9EllbEEZZNS1_14partition_implILS5_9ELb0ES3_jPKlN6thrust23THRUST_200600_302600_NS17counting_iteratorIlNSB_11use_defaultESD_SD_EEPNS0_10empty_typeENS0_5tupleIJPlSF_EEENSH_IJSI_SG_EEENS0_18inequality_wrapperIN6hipcub16HIPCUB_304000_NS8EqualityEEESI_JSF_EEE10hipError_tPvRmT3_T4_T5_T6_T7_T9_mT8_P12ihipStream_tbDpT10_ENKUlT_T0_E_clISt17integral_constantIbLb0EES18_IbLb1EEEEDaS14_S15_EUlS14_E_NS1_11comp_targetILNS1_3genE10ELNS1_11target_archE1200ELNS1_3gpuE4ELNS1_3repE0EEENS1_30default_config_static_selectorELNS0_4arch9wavefront6targetE1EEEvT1_: ; @_ZN7rocprim17ROCPRIM_400000_NS6detail17trampoline_kernelINS0_14default_configENS1_25partition_config_selectorILNS1_17partition_subalgoE9EllbEEZZNS1_14partition_implILS5_9ELb0ES3_jPKlN6thrust23THRUST_200600_302600_NS17counting_iteratorIlNSB_11use_defaultESD_SD_EEPNS0_10empty_typeENS0_5tupleIJPlSF_EEENSH_IJSI_SG_EEENS0_18inequality_wrapperIN6hipcub16HIPCUB_304000_NS8EqualityEEESI_JSF_EEE10hipError_tPvRmT3_T4_T5_T6_T7_T9_mT8_P12ihipStream_tbDpT10_ENKUlT_T0_E_clISt17integral_constantIbLb0EES18_IbLb1EEEEDaS14_S15_EUlS14_E_NS1_11comp_targetILNS1_3genE10ELNS1_11target_archE1200ELNS1_3gpuE4ELNS1_3repE0EEENS1_30default_config_static_selectorELNS0_4arch9wavefront6targetE1EEEvT1_
; %bb.0:
	.section	.rodata,"a",@progbits
	.p2align	6, 0x0
	.amdhsa_kernel _ZN7rocprim17ROCPRIM_400000_NS6detail17trampoline_kernelINS0_14default_configENS1_25partition_config_selectorILNS1_17partition_subalgoE9EllbEEZZNS1_14partition_implILS5_9ELb0ES3_jPKlN6thrust23THRUST_200600_302600_NS17counting_iteratorIlNSB_11use_defaultESD_SD_EEPNS0_10empty_typeENS0_5tupleIJPlSF_EEENSH_IJSI_SG_EEENS0_18inequality_wrapperIN6hipcub16HIPCUB_304000_NS8EqualityEEESI_JSF_EEE10hipError_tPvRmT3_T4_T5_T6_T7_T9_mT8_P12ihipStream_tbDpT10_ENKUlT_T0_E_clISt17integral_constantIbLb0EES18_IbLb1EEEEDaS14_S15_EUlS14_E_NS1_11comp_targetILNS1_3genE10ELNS1_11target_archE1200ELNS1_3gpuE4ELNS1_3repE0EEENS1_30default_config_static_selectorELNS0_4arch9wavefront6targetE1EEEvT1_
		.amdhsa_group_segment_fixed_size 0
		.amdhsa_private_segment_fixed_size 0
		.amdhsa_kernarg_size 128
		.amdhsa_user_sgpr_count 6
		.amdhsa_user_sgpr_private_segment_buffer 1
		.amdhsa_user_sgpr_dispatch_ptr 0
		.amdhsa_user_sgpr_queue_ptr 0
		.amdhsa_user_sgpr_kernarg_segment_ptr 1
		.amdhsa_user_sgpr_dispatch_id 0
		.amdhsa_user_sgpr_flat_scratch_init 0
		.amdhsa_user_sgpr_kernarg_preload_length 0
		.amdhsa_user_sgpr_kernarg_preload_offset 0
		.amdhsa_user_sgpr_private_segment_size 0
		.amdhsa_uses_dynamic_stack 0
		.amdhsa_system_sgpr_private_segment_wavefront_offset 0
		.amdhsa_system_sgpr_workgroup_id_x 1
		.amdhsa_system_sgpr_workgroup_id_y 0
		.amdhsa_system_sgpr_workgroup_id_z 0
		.amdhsa_system_sgpr_workgroup_info 0
		.amdhsa_system_vgpr_workitem_id 0
		.amdhsa_next_free_vgpr 1
		.amdhsa_next_free_sgpr 0
		.amdhsa_accum_offset 4
		.amdhsa_reserve_vcc 0
		.amdhsa_reserve_flat_scratch 0
		.amdhsa_float_round_mode_32 0
		.amdhsa_float_round_mode_16_64 0
		.amdhsa_float_denorm_mode_32 3
		.amdhsa_float_denorm_mode_16_64 3
		.amdhsa_dx10_clamp 1
		.amdhsa_ieee_mode 1
		.amdhsa_fp16_overflow 0
		.amdhsa_tg_split 0
		.amdhsa_exception_fp_ieee_invalid_op 0
		.amdhsa_exception_fp_denorm_src 0
		.amdhsa_exception_fp_ieee_div_zero 0
		.amdhsa_exception_fp_ieee_overflow 0
		.amdhsa_exception_fp_ieee_underflow 0
		.amdhsa_exception_fp_ieee_inexact 0
		.amdhsa_exception_int_div_zero 0
	.end_amdhsa_kernel
	.section	.text._ZN7rocprim17ROCPRIM_400000_NS6detail17trampoline_kernelINS0_14default_configENS1_25partition_config_selectorILNS1_17partition_subalgoE9EllbEEZZNS1_14partition_implILS5_9ELb0ES3_jPKlN6thrust23THRUST_200600_302600_NS17counting_iteratorIlNSB_11use_defaultESD_SD_EEPNS0_10empty_typeENS0_5tupleIJPlSF_EEENSH_IJSI_SG_EEENS0_18inequality_wrapperIN6hipcub16HIPCUB_304000_NS8EqualityEEESI_JSF_EEE10hipError_tPvRmT3_T4_T5_T6_T7_T9_mT8_P12ihipStream_tbDpT10_ENKUlT_T0_E_clISt17integral_constantIbLb0EES18_IbLb1EEEEDaS14_S15_EUlS14_E_NS1_11comp_targetILNS1_3genE10ELNS1_11target_archE1200ELNS1_3gpuE4ELNS1_3repE0EEENS1_30default_config_static_selectorELNS0_4arch9wavefront6targetE1EEEvT1_,"axG",@progbits,_ZN7rocprim17ROCPRIM_400000_NS6detail17trampoline_kernelINS0_14default_configENS1_25partition_config_selectorILNS1_17partition_subalgoE9EllbEEZZNS1_14partition_implILS5_9ELb0ES3_jPKlN6thrust23THRUST_200600_302600_NS17counting_iteratorIlNSB_11use_defaultESD_SD_EEPNS0_10empty_typeENS0_5tupleIJPlSF_EEENSH_IJSI_SG_EEENS0_18inequality_wrapperIN6hipcub16HIPCUB_304000_NS8EqualityEEESI_JSF_EEE10hipError_tPvRmT3_T4_T5_T6_T7_T9_mT8_P12ihipStream_tbDpT10_ENKUlT_T0_E_clISt17integral_constantIbLb0EES18_IbLb1EEEEDaS14_S15_EUlS14_E_NS1_11comp_targetILNS1_3genE10ELNS1_11target_archE1200ELNS1_3gpuE4ELNS1_3repE0EEENS1_30default_config_static_selectorELNS0_4arch9wavefront6targetE1EEEvT1_,comdat
.Lfunc_end73:
	.size	_ZN7rocprim17ROCPRIM_400000_NS6detail17trampoline_kernelINS0_14default_configENS1_25partition_config_selectorILNS1_17partition_subalgoE9EllbEEZZNS1_14partition_implILS5_9ELb0ES3_jPKlN6thrust23THRUST_200600_302600_NS17counting_iteratorIlNSB_11use_defaultESD_SD_EEPNS0_10empty_typeENS0_5tupleIJPlSF_EEENSH_IJSI_SG_EEENS0_18inequality_wrapperIN6hipcub16HIPCUB_304000_NS8EqualityEEESI_JSF_EEE10hipError_tPvRmT3_T4_T5_T6_T7_T9_mT8_P12ihipStream_tbDpT10_ENKUlT_T0_E_clISt17integral_constantIbLb0EES18_IbLb1EEEEDaS14_S15_EUlS14_E_NS1_11comp_targetILNS1_3genE10ELNS1_11target_archE1200ELNS1_3gpuE4ELNS1_3repE0EEENS1_30default_config_static_selectorELNS0_4arch9wavefront6targetE1EEEvT1_, .Lfunc_end73-_ZN7rocprim17ROCPRIM_400000_NS6detail17trampoline_kernelINS0_14default_configENS1_25partition_config_selectorILNS1_17partition_subalgoE9EllbEEZZNS1_14partition_implILS5_9ELb0ES3_jPKlN6thrust23THRUST_200600_302600_NS17counting_iteratorIlNSB_11use_defaultESD_SD_EEPNS0_10empty_typeENS0_5tupleIJPlSF_EEENSH_IJSI_SG_EEENS0_18inequality_wrapperIN6hipcub16HIPCUB_304000_NS8EqualityEEESI_JSF_EEE10hipError_tPvRmT3_T4_T5_T6_T7_T9_mT8_P12ihipStream_tbDpT10_ENKUlT_T0_E_clISt17integral_constantIbLb0EES18_IbLb1EEEEDaS14_S15_EUlS14_E_NS1_11comp_targetILNS1_3genE10ELNS1_11target_archE1200ELNS1_3gpuE4ELNS1_3repE0EEENS1_30default_config_static_selectorELNS0_4arch9wavefront6targetE1EEEvT1_
                                        ; -- End function
	.section	.AMDGPU.csdata,"",@progbits
; Kernel info:
; codeLenInByte = 0
; NumSgprs: 4
; NumVgprs: 0
; NumAgprs: 0
; TotalNumVgprs: 0
; ScratchSize: 0
; MemoryBound: 0
; FloatMode: 240
; IeeeMode: 1
; LDSByteSize: 0 bytes/workgroup (compile time only)
; SGPRBlocks: 0
; VGPRBlocks: 0
; NumSGPRsForWavesPerEU: 4
; NumVGPRsForWavesPerEU: 1
; AccumOffset: 4
; Occupancy: 8
; WaveLimiterHint : 0
; COMPUTE_PGM_RSRC2:SCRATCH_EN: 0
; COMPUTE_PGM_RSRC2:USER_SGPR: 6
; COMPUTE_PGM_RSRC2:TRAP_HANDLER: 0
; COMPUTE_PGM_RSRC2:TGID_X_EN: 1
; COMPUTE_PGM_RSRC2:TGID_Y_EN: 0
; COMPUTE_PGM_RSRC2:TGID_Z_EN: 0
; COMPUTE_PGM_RSRC2:TIDIG_COMP_CNT: 0
; COMPUTE_PGM_RSRC3_GFX90A:ACCUM_OFFSET: 0
; COMPUTE_PGM_RSRC3_GFX90A:TG_SPLIT: 0
	.section	.text._ZN7rocprim17ROCPRIM_400000_NS6detail17trampoline_kernelINS0_14default_configENS1_25partition_config_selectorILNS1_17partition_subalgoE9EllbEEZZNS1_14partition_implILS5_9ELb0ES3_jPKlN6thrust23THRUST_200600_302600_NS17counting_iteratorIlNSB_11use_defaultESD_SD_EEPNS0_10empty_typeENS0_5tupleIJPlSF_EEENSH_IJSI_SG_EEENS0_18inequality_wrapperIN6hipcub16HIPCUB_304000_NS8EqualityEEESI_JSF_EEE10hipError_tPvRmT3_T4_T5_T6_T7_T9_mT8_P12ihipStream_tbDpT10_ENKUlT_T0_E_clISt17integral_constantIbLb0EES18_IbLb1EEEEDaS14_S15_EUlS14_E_NS1_11comp_targetILNS1_3genE9ELNS1_11target_archE1100ELNS1_3gpuE3ELNS1_3repE0EEENS1_30default_config_static_selectorELNS0_4arch9wavefront6targetE1EEEvT1_,"axG",@progbits,_ZN7rocprim17ROCPRIM_400000_NS6detail17trampoline_kernelINS0_14default_configENS1_25partition_config_selectorILNS1_17partition_subalgoE9EllbEEZZNS1_14partition_implILS5_9ELb0ES3_jPKlN6thrust23THRUST_200600_302600_NS17counting_iteratorIlNSB_11use_defaultESD_SD_EEPNS0_10empty_typeENS0_5tupleIJPlSF_EEENSH_IJSI_SG_EEENS0_18inequality_wrapperIN6hipcub16HIPCUB_304000_NS8EqualityEEESI_JSF_EEE10hipError_tPvRmT3_T4_T5_T6_T7_T9_mT8_P12ihipStream_tbDpT10_ENKUlT_T0_E_clISt17integral_constantIbLb0EES18_IbLb1EEEEDaS14_S15_EUlS14_E_NS1_11comp_targetILNS1_3genE9ELNS1_11target_archE1100ELNS1_3gpuE3ELNS1_3repE0EEENS1_30default_config_static_selectorELNS0_4arch9wavefront6targetE1EEEvT1_,comdat
	.protected	_ZN7rocprim17ROCPRIM_400000_NS6detail17trampoline_kernelINS0_14default_configENS1_25partition_config_selectorILNS1_17partition_subalgoE9EllbEEZZNS1_14partition_implILS5_9ELb0ES3_jPKlN6thrust23THRUST_200600_302600_NS17counting_iteratorIlNSB_11use_defaultESD_SD_EEPNS0_10empty_typeENS0_5tupleIJPlSF_EEENSH_IJSI_SG_EEENS0_18inequality_wrapperIN6hipcub16HIPCUB_304000_NS8EqualityEEESI_JSF_EEE10hipError_tPvRmT3_T4_T5_T6_T7_T9_mT8_P12ihipStream_tbDpT10_ENKUlT_T0_E_clISt17integral_constantIbLb0EES18_IbLb1EEEEDaS14_S15_EUlS14_E_NS1_11comp_targetILNS1_3genE9ELNS1_11target_archE1100ELNS1_3gpuE3ELNS1_3repE0EEENS1_30default_config_static_selectorELNS0_4arch9wavefront6targetE1EEEvT1_ ; -- Begin function _ZN7rocprim17ROCPRIM_400000_NS6detail17trampoline_kernelINS0_14default_configENS1_25partition_config_selectorILNS1_17partition_subalgoE9EllbEEZZNS1_14partition_implILS5_9ELb0ES3_jPKlN6thrust23THRUST_200600_302600_NS17counting_iteratorIlNSB_11use_defaultESD_SD_EEPNS0_10empty_typeENS0_5tupleIJPlSF_EEENSH_IJSI_SG_EEENS0_18inequality_wrapperIN6hipcub16HIPCUB_304000_NS8EqualityEEESI_JSF_EEE10hipError_tPvRmT3_T4_T5_T6_T7_T9_mT8_P12ihipStream_tbDpT10_ENKUlT_T0_E_clISt17integral_constantIbLb0EES18_IbLb1EEEEDaS14_S15_EUlS14_E_NS1_11comp_targetILNS1_3genE9ELNS1_11target_archE1100ELNS1_3gpuE3ELNS1_3repE0EEENS1_30default_config_static_selectorELNS0_4arch9wavefront6targetE1EEEvT1_
	.globl	_ZN7rocprim17ROCPRIM_400000_NS6detail17trampoline_kernelINS0_14default_configENS1_25partition_config_selectorILNS1_17partition_subalgoE9EllbEEZZNS1_14partition_implILS5_9ELb0ES3_jPKlN6thrust23THRUST_200600_302600_NS17counting_iteratorIlNSB_11use_defaultESD_SD_EEPNS0_10empty_typeENS0_5tupleIJPlSF_EEENSH_IJSI_SG_EEENS0_18inequality_wrapperIN6hipcub16HIPCUB_304000_NS8EqualityEEESI_JSF_EEE10hipError_tPvRmT3_T4_T5_T6_T7_T9_mT8_P12ihipStream_tbDpT10_ENKUlT_T0_E_clISt17integral_constantIbLb0EES18_IbLb1EEEEDaS14_S15_EUlS14_E_NS1_11comp_targetILNS1_3genE9ELNS1_11target_archE1100ELNS1_3gpuE3ELNS1_3repE0EEENS1_30default_config_static_selectorELNS0_4arch9wavefront6targetE1EEEvT1_
	.p2align	8
	.type	_ZN7rocprim17ROCPRIM_400000_NS6detail17trampoline_kernelINS0_14default_configENS1_25partition_config_selectorILNS1_17partition_subalgoE9EllbEEZZNS1_14partition_implILS5_9ELb0ES3_jPKlN6thrust23THRUST_200600_302600_NS17counting_iteratorIlNSB_11use_defaultESD_SD_EEPNS0_10empty_typeENS0_5tupleIJPlSF_EEENSH_IJSI_SG_EEENS0_18inequality_wrapperIN6hipcub16HIPCUB_304000_NS8EqualityEEESI_JSF_EEE10hipError_tPvRmT3_T4_T5_T6_T7_T9_mT8_P12ihipStream_tbDpT10_ENKUlT_T0_E_clISt17integral_constantIbLb0EES18_IbLb1EEEEDaS14_S15_EUlS14_E_NS1_11comp_targetILNS1_3genE9ELNS1_11target_archE1100ELNS1_3gpuE3ELNS1_3repE0EEENS1_30default_config_static_selectorELNS0_4arch9wavefront6targetE1EEEvT1_,@function
_ZN7rocprim17ROCPRIM_400000_NS6detail17trampoline_kernelINS0_14default_configENS1_25partition_config_selectorILNS1_17partition_subalgoE9EllbEEZZNS1_14partition_implILS5_9ELb0ES3_jPKlN6thrust23THRUST_200600_302600_NS17counting_iteratorIlNSB_11use_defaultESD_SD_EEPNS0_10empty_typeENS0_5tupleIJPlSF_EEENSH_IJSI_SG_EEENS0_18inequality_wrapperIN6hipcub16HIPCUB_304000_NS8EqualityEEESI_JSF_EEE10hipError_tPvRmT3_T4_T5_T6_T7_T9_mT8_P12ihipStream_tbDpT10_ENKUlT_T0_E_clISt17integral_constantIbLb0EES18_IbLb1EEEEDaS14_S15_EUlS14_E_NS1_11comp_targetILNS1_3genE9ELNS1_11target_archE1100ELNS1_3gpuE3ELNS1_3repE0EEENS1_30default_config_static_selectorELNS0_4arch9wavefront6targetE1EEEvT1_: ; @_ZN7rocprim17ROCPRIM_400000_NS6detail17trampoline_kernelINS0_14default_configENS1_25partition_config_selectorILNS1_17partition_subalgoE9EllbEEZZNS1_14partition_implILS5_9ELb0ES3_jPKlN6thrust23THRUST_200600_302600_NS17counting_iteratorIlNSB_11use_defaultESD_SD_EEPNS0_10empty_typeENS0_5tupleIJPlSF_EEENSH_IJSI_SG_EEENS0_18inequality_wrapperIN6hipcub16HIPCUB_304000_NS8EqualityEEESI_JSF_EEE10hipError_tPvRmT3_T4_T5_T6_T7_T9_mT8_P12ihipStream_tbDpT10_ENKUlT_T0_E_clISt17integral_constantIbLb0EES18_IbLb1EEEEDaS14_S15_EUlS14_E_NS1_11comp_targetILNS1_3genE9ELNS1_11target_archE1100ELNS1_3gpuE3ELNS1_3repE0EEENS1_30default_config_static_selectorELNS0_4arch9wavefront6targetE1EEEvT1_
; %bb.0:
	.section	.rodata,"a",@progbits
	.p2align	6, 0x0
	.amdhsa_kernel _ZN7rocprim17ROCPRIM_400000_NS6detail17trampoline_kernelINS0_14default_configENS1_25partition_config_selectorILNS1_17partition_subalgoE9EllbEEZZNS1_14partition_implILS5_9ELb0ES3_jPKlN6thrust23THRUST_200600_302600_NS17counting_iteratorIlNSB_11use_defaultESD_SD_EEPNS0_10empty_typeENS0_5tupleIJPlSF_EEENSH_IJSI_SG_EEENS0_18inequality_wrapperIN6hipcub16HIPCUB_304000_NS8EqualityEEESI_JSF_EEE10hipError_tPvRmT3_T4_T5_T6_T7_T9_mT8_P12ihipStream_tbDpT10_ENKUlT_T0_E_clISt17integral_constantIbLb0EES18_IbLb1EEEEDaS14_S15_EUlS14_E_NS1_11comp_targetILNS1_3genE9ELNS1_11target_archE1100ELNS1_3gpuE3ELNS1_3repE0EEENS1_30default_config_static_selectorELNS0_4arch9wavefront6targetE1EEEvT1_
		.amdhsa_group_segment_fixed_size 0
		.amdhsa_private_segment_fixed_size 0
		.amdhsa_kernarg_size 128
		.amdhsa_user_sgpr_count 6
		.amdhsa_user_sgpr_private_segment_buffer 1
		.amdhsa_user_sgpr_dispatch_ptr 0
		.amdhsa_user_sgpr_queue_ptr 0
		.amdhsa_user_sgpr_kernarg_segment_ptr 1
		.amdhsa_user_sgpr_dispatch_id 0
		.amdhsa_user_sgpr_flat_scratch_init 0
		.amdhsa_user_sgpr_kernarg_preload_length 0
		.amdhsa_user_sgpr_kernarg_preload_offset 0
		.amdhsa_user_sgpr_private_segment_size 0
		.amdhsa_uses_dynamic_stack 0
		.amdhsa_system_sgpr_private_segment_wavefront_offset 0
		.amdhsa_system_sgpr_workgroup_id_x 1
		.amdhsa_system_sgpr_workgroup_id_y 0
		.amdhsa_system_sgpr_workgroup_id_z 0
		.amdhsa_system_sgpr_workgroup_info 0
		.amdhsa_system_vgpr_workitem_id 0
		.amdhsa_next_free_vgpr 1
		.amdhsa_next_free_sgpr 0
		.amdhsa_accum_offset 4
		.amdhsa_reserve_vcc 0
		.amdhsa_reserve_flat_scratch 0
		.amdhsa_float_round_mode_32 0
		.amdhsa_float_round_mode_16_64 0
		.amdhsa_float_denorm_mode_32 3
		.amdhsa_float_denorm_mode_16_64 3
		.amdhsa_dx10_clamp 1
		.amdhsa_ieee_mode 1
		.amdhsa_fp16_overflow 0
		.amdhsa_tg_split 0
		.amdhsa_exception_fp_ieee_invalid_op 0
		.amdhsa_exception_fp_denorm_src 0
		.amdhsa_exception_fp_ieee_div_zero 0
		.amdhsa_exception_fp_ieee_overflow 0
		.amdhsa_exception_fp_ieee_underflow 0
		.amdhsa_exception_fp_ieee_inexact 0
		.amdhsa_exception_int_div_zero 0
	.end_amdhsa_kernel
	.section	.text._ZN7rocprim17ROCPRIM_400000_NS6detail17trampoline_kernelINS0_14default_configENS1_25partition_config_selectorILNS1_17partition_subalgoE9EllbEEZZNS1_14partition_implILS5_9ELb0ES3_jPKlN6thrust23THRUST_200600_302600_NS17counting_iteratorIlNSB_11use_defaultESD_SD_EEPNS0_10empty_typeENS0_5tupleIJPlSF_EEENSH_IJSI_SG_EEENS0_18inequality_wrapperIN6hipcub16HIPCUB_304000_NS8EqualityEEESI_JSF_EEE10hipError_tPvRmT3_T4_T5_T6_T7_T9_mT8_P12ihipStream_tbDpT10_ENKUlT_T0_E_clISt17integral_constantIbLb0EES18_IbLb1EEEEDaS14_S15_EUlS14_E_NS1_11comp_targetILNS1_3genE9ELNS1_11target_archE1100ELNS1_3gpuE3ELNS1_3repE0EEENS1_30default_config_static_selectorELNS0_4arch9wavefront6targetE1EEEvT1_,"axG",@progbits,_ZN7rocprim17ROCPRIM_400000_NS6detail17trampoline_kernelINS0_14default_configENS1_25partition_config_selectorILNS1_17partition_subalgoE9EllbEEZZNS1_14partition_implILS5_9ELb0ES3_jPKlN6thrust23THRUST_200600_302600_NS17counting_iteratorIlNSB_11use_defaultESD_SD_EEPNS0_10empty_typeENS0_5tupleIJPlSF_EEENSH_IJSI_SG_EEENS0_18inequality_wrapperIN6hipcub16HIPCUB_304000_NS8EqualityEEESI_JSF_EEE10hipError_tPvRmT3_T4_T5_T6_T7_T9_mT8_P12ihipStream_tbDpT10_ENKUlT_T0_E_clISt17integral_constantIbLb0EES18_IbLb1EEEEDaS14_S15_EUlS14_E_NS1_11comp_targetILNS1_3genE9ELNS1_11target_archE1100ELNS1_3gpuE3ELNS1_3repE0EEENS1_30default_config_static_selectorELNS0_4arch9wavefront6targetE1EEEvT1_,comdat
.Lfunc_end74:
	.size	_ZN7rocprim17ROCPRIM_400000_NS6detail17trampoline_kernelINS0_14default_configENS1_25partition_config_selectorILNS1_17partition_subalgoE9EllbEEZZNS1_14partition_implILS5_9ELb0ES3_jPKlN6thrust23THRUST_200600_302600_NS17counting_iteratorIlNSB_11use_defaultESD_SD_EEPNS0_10empty_typeENS0_5tupleIJPlSF_EEENSH_IJSI_SG_EEENS0_18inequality_wrapperIN6hipcub16HIPCUB_304000_NS8EqualityEEESI_JSF_EEE10hipError_tPvRmT3_T4_T5_T6_T7_T9_mT8_P12ihipStream_tbDpT10_ENKUlT_T0_E_clISt17integral_constantIbLb0EES18_IbLb1EEEEDaS14_S15_EUlS14_E_NS1_11comp_targetILNS1_3genE9ELNS1_11target_archE1100ELNS1_3gpuE3ELNS1_3repE0EEENS1_30default_config_static_selectorELNS0_4arch9wavefront6targetE1EEEvT1_, .Lfunc_end74-_ZN7rocprim17ROCPRIM_400000_NS6detail17trampoline_kernelINS0_14default_configENS1_25partition_config_selectorILNS1_17partition_subalgoE9EllbEEZZNS1_14partition_implILS5_9ELb0ES3_jPKlN6thrust23THRUST_200600_302600_NS17counting_iteratorIlNSB_11use_defaultESD_SD_EEPNS0_10empty_typeENS0_5tupleIJPlSF_EEENSH_IJSI_SG_EEENS0_18inequality_wrapperIN6hipcub16HIPCUB_304000_NS8EqualityEEESI_JSF_EEE10hipError_tPvRmT3_T4_T5_T6_T7_T9_mT8_P12ihipStream_tbDpT10_ENKUlT_T0_E_clISt17integral_constantIbLb0EES18_IbLb1EEEEDaS14_S15_EUlS14_E_NS1_11comp_targetILNS1_3genE9ELNS1_11target_archE1100ELNS1_3gpuE3ELNS1_3repE0EEENS1_30default_config_static_selectorELNS0_4arch9wavefront6targetE1EEEvT1_
                                        ; -- End function
	.section	.AMDGPU.csdata,"",@progbits
; Kernel info:
; codeLenInByte = 0
; NumSgprs: 4
; NumVgprs: 0
; NumAgprs: 0
; TotalNumVgprs: 0
; ScratchSize: 0
; MemoryBound: 0
; FloatMode: 240
; IeeeMode: 1
; LDSByteSize: 0 bytes/workgroup (compile time only)
; SGPRBlocks: 0
; VGPRBlocks: 0
; NumSGPRsForWavesPerEU: 4
; NumVGPRsForWavesPerEU: 1
; AccumOffset: 4
; Occupancy: 8
; WaveLimiterHint : 0
; COMPUTE_PGM_RSRC2:SCRATCH_EN: 0
; COMPUTE_PGM_RSRC2:USER_SGPR: 6
; COMPUTE_PGM_RSRC2:TRAP_HANDLER: 0
; COMPUTE_PGM_RSRC2:TGID_X_EN: 1
; COMPUTE_PGM_RSRC2:TGID_Y_EN: 0
; COMPUTE_PGM_RSRC2:TGID_Z_EN: 0
; COMPUTE_PGM_RSRC2:TIDIG_COMP_CNT: 0
; COMPUTE_PGM_RSRC3_GFX90A:ACCUM_OFFSET: 0
; COMPUTE_PGM_RSRC3_GFX90A:TG_SPLIT: 0
	.section	.text._ZN7rocprim17ROCPRIM_400000_NS6detail17trampoline_kernelINS0_14default_configENS1_25partition_config_selectorILNS1_17partition_subalgoE9EllbEEZZNS1_14partition_implILS5_9ELb0ES3_jPKlN6thrust23THRUST_200600_302600_NS17counting_iteratorIlNSB_11use_defaultESD_SD_EEPNS0_10empty_typeENS0_5tupleIJPlSF_EEENSH_IJSI_SG_EEENS0_18inequality_wrapperIN6hipcub16HIPCUB_304000_NS8EqualityEEESI_JSF_EEE10hipError_tPvRmT3_T4_T5_T6_T7_T9_mT8_P12ihipStream_tbDpT10_ENKUlT_T0_E_clISt17integral_constantIbLb0EES18_IbLb1EEEEDaS14_S15_EUlS14_E_NS1_11comp_targetILNS1_3genE8ELNS1_11target_archE1030ELNS1_3gpuE2ELNS1_3repE0EEENS1_30default_config_static_selectorELNS0_4arch9wavefront6targetE1EEEvT1_,"axG",@progbits,_ZN7rocprim17ROCPRIM_400000_NS6detail17trampoline_kernelINS0_14default_configENS1_25partition_config_selectorILNS1_17partition_subalgoE9EllbEEZZNS1_14partition_implILS5_9ELb0ES3_jPKlN6thrust23THRUST_200600_302600_NS17counting_iteratorIlNSB_11use_defaultESD_SD_EEPNS0_10empty_typeENS0_5tupleIJPlSF_EEENSH_IJSI_SG_EEENS0_18inequality_wrapperIN6hipcub16HIPCUB_304000_NS8EqualityEEESI_JSF_EEE10hipError_tPvRmT3_T4_T5_T6_T7_T9_mT8_P12ihipStream_tbDpT10_ENKUlT_T0_E_clISt17integral_constantIbLb0EES18_IbLb1EEEEDaS14_S15_EUlS14_E_NS1_11comp_targetILNS1_3genE8ELNS1_11target_archE1030ELNS1_3gpuE2ELNS1_3repE0EEENS1_30default_config_static_selectorELNS0_4arch9wavefront6targetE1EEEvT1_,comdat
	.protected	_ZN7rocprim17ROCPRIM_400000_NS6detail17trampoline_kernelINS0_14default_configENS1_25partition_config_selectorILNS1_17partition_subalgoE9EllbEEZZNS1_14partition_implILS5_9ELb0ES3_jPKlN6thrust23THRUST_200600_302600_NS17counting_iteratorIlNSB_11use_defaultESD_SD_EEPNS0_10empty_typeENS0_5tupleIJPlSF_EEENSH_IJSI_SG_EEENS0_18inequality_wrapperIN6hipcub16HIPCUB_304000_NS8EqualityEEESI_JSF_EEE10hipError_tPvRmT3_T4_T5_T6_T7_T9_mT8_P12ihipStream_tbDpT10_ENKUlT_T0_E_clISt17integral_constantIbLb0EES18_IbLb1EEEEDaS14_S15_EUlS14_E_NS1_11comp_targetILNS1_3genE8ELNS1_11target_archE1030ELNS1_3gpuE2ELNS1_3repE0EEENS1_30default_config_static_selectorELNS0_4arch9wavefront6targetE1EEEvT1_ ; -- Begin function _ZN7rocprim17ROCPRIM_400000_NS6detail17trampoline_kernelINS0_14default_configENS1_25partition_config_selectorILNS1_17partition_subalgoE9EllbEEZZNS1_14partition_implILS5_9ELb0ES3_jPKlN6thrust23THRUST_200600_302600_NS17counting_iteratorIlNSB_11use_defaultESD_SD_EEPNS0_10empty_typeENS0_5tupleIJPlSF_EEENSH_IJSI_SG_EEENS0_18inequality_wrapperIN6hipcub16HIPCUB_304000_NS8EqualityEEESI_JSF_EEE10hipError_tPvRmT3_T4_T5_T6_T7_T9_mT8_P12ihipStream_tbDpT10_ENKUlT_T0_E_clISt17integral_constantIbLb0EES18_IbLb1EEEEDaS14_S15_EUlS14_E_NS1_11comp_targetILNS1_3genE8ELNS1_11target_archE1030ELNS1_3gpuE2ELNS1_3repE0EEENS1_30default_config_static_selectorELNS0_4arch9wavefront6targetE1EEEvT1_
	.globl	_ZN7rocprim17ROCPRIM_400000_NS6detail17trampoline_kernelINS0_14default_configENS1_25partition_config_selectorILNS1_17partition_subalgoE9EllbEEZZNS1_14partition_implILS5_9ELb0ES3_jPKlN6thrust23THRUST_200600_302600_NS17counting_iteratorIlNSB_11use_defaultESD_SD_EEPNS0_10empty_typeENS0_5tupleIJPlSF_EEENSH_IJSI_SG_EEENS0_18inequality_wrapperIN6hipcub16HIPCUB_304000_NS8EqualityEEESI_JSF_EEE10hipError_tPvRmT3_T4_T5_T6_T7_T9_mT8_P12ihipStream_tbDpT10_ENKUlT_T0_E_clISt17integral_constantIbLb0EES18_IbLb1EEEEDaS14_S15_EUlS14_E_NS1_11comp_targetILNS1_3genE8ELNS1_11target_archE1030ELNS1_3gpuE2ELNS1_3repE0EEENS1_30default_config_static_selectorELNS0_4arch9wavefront6targetE1EEEvT1_
	.p2align	8
	.type	_ZN7rocprim17ROCPRIM_400000_NS6detail17trampoline_kernelINS0_14default_configENS1_25partition_config_selectorILNS1_17partition_subalgoE9EllbEEZZNS1_14partition_implILS5_9ELb0ES3_jPKlN6thrust23THRUST_200600_302600_NS17counting_iteratorIlNSB_11use_defaultESD_SD_EEPNS0_10empty_typeENS0_5tupleIJPlSF_EEENSH_IJSI_SG_EEENS0_18inequality_wrapperIN6hipcub16HIPCUB_304000_NS8EqualityEEESI_JSF_EEE10hipError_tPvRmT3_T4_T5_T6_T7_T9_mT8_P12ihipStream_tbDpT10_ENKUlT_T0_E_clISt17integral_constantIbLb0EES18_IbLb1EEEEDaS14_S15_EUlS14_E_NS1_11comp_targetILNS1_3genE8ELNS1_11target_archE1030ELNS1_3gpuE2ELNS1_3repE0EEENS1_30default_config_static_selectorELNS0_4arch9wavefront6targetE1EEEvT1_,@function
_ZN7rocprim17ROCPRIM_400000_NS6detail17trampoline_kernelINS0_14default_configENS1_25partition_config_selectorILNS1_17partition_subalgoE9EllbEEZZNS1_14partition_implILS5_9ELb0ES3_jPKlN6thrust23THRUST_200600_302600_NS17counting_iteratorIlNSB_11use_defaultESD_SD_EEPNS0_10empty_typeENS0_5tupleIJPlSF_EEENSH_IJSI_SG_EEENS0_18inequality_wrapperIN6hipcub16HIPCUB_304000_NS8EqualityEEESI_JSF_EEE10hipError_tPvRmT3_T4_T5_T6_T7_T9_mT8_P12ihipStream_tbDpT10_ENKUlT_T0_E_clISt17integral_constantIbLb0EES18_IbLb1EEEEDaS14_S15_EUlS14_E_NS1_11comp_targetILNS1_3genE8ELNS1_11target_archE1030ELNS1_3gpuE2ELNS1_3repE0EEENS1_30default_config_static_selectorELNS0_4arch9wavefront6targetE1EEEvT1_: ; @_ZN7rocprim17ROCPRIM_400000_NS6detail17trampoline_kernelINS0_14default_configENS1_25partition_config_selectorILNS1_17partition_subalgoE9EllbEEZZNS1_14partition_implILS5_9ELb0ES3_jPKlN6thrust23THRUST_200600_302600_NS17counting_iteratorIlNSB_11use_defaultESD_SD_EEPNS0_10empty_typeENS0_5tupleIJPlSF_EEENSH_IJSI_SG_EEENS0_18inequality_wrapperIN6hipcub16HIPCUB_304000_NS8EqualityEEESI_JSF_EEE10hipError_tPvRmT3_T4_T5_T6_T7_T9_mT8_P12ihipStream_tbDpT10_ENKUlT_T0_E_clISt17integral_constantIbLb0EES18_IbLb1EEEEDaS14_S15_EUlS14_E_NS1_11comp_targetILNS1_3genE8ELNS1_11target_archE1030ELNS1_3gpuE2ELNS1_3repE0EEENS1_30default_config_static_selectorELNS0_4arch9wavefront6targetE1EEEvT1_
; %bb.0:
	.section	.rodata,"a",@progbits
	.p2align	6, 0x0
	.amdhsa_kernel _ZN7rocprim17ROCPRIM_400000_NS6detail17trampoline_kernelINS0_14default_configENS1_25partition_config_selectorILNS1_17partition_subalgoE9EllbEEZZNS1_14partition_implILS5_9ELb0ES3_jPKlN6thrust23THRUST_200600_302600_NS17counting_iteratorIlNSB_11use_defaultESD_SD_EEPNS0_10empty_typeENS0_5tupleIJPlSF_EEENSH_IJSI_SG_EEENS0_18inequality_wrapperIN6hipcub16HIPCUB_304000_NS8EqualityEEESI_JSF_EEE10hipError_tPvRmT3_T4_T5_T6_T7_T9_mT8_P12ihipStream_tbDpT10_ENKUlT_T0_E_clISt17integral_constantIbLb0EES18_IbLb1EEEEDaS14_S15_EUlS14_E_NS1_11comp_targetILNS1_3genE8ELNS1_11target_archE1030ELNS1_3gpuE2ELNS1_3repE0EEENS1_30default_config_static_selectorELNS0_4arch9wavefront6targetE1EEEvT1_
		.amdhsa_group_segment_fixed_size 0
		.amdhsa_private_segment_fixed_size 0
		.amdhsa_kernarg_size 128
		.amdhsa_user_sgpr_count 6
		.amdhsa_user_sgpr_private_segment_buffer 1
		.amdhsa_user_sgpr_dispatch_ptr 0
		.amdhsa_user_sgpr_queue_ptr 0
		.amdhsa_user_sgpr_kernarg_segment_ptr 1
		.amdhsa_user_sgpr_dispatch_id 0
		.amdhsa_user_sgpr_flat_scratch_init 0
		.amdhsa_user_sgpr_kernarg_preload_length 0
		.amdhsa_user_sgpr_kernarg_preload_offset 0
		.amdhsa_user_sgpr_private_segment_size 0
		.amdhsa_uses_dynamic_stack 0
		.amdhsa_system_sgpr_private_segment_wavefront_offset 0
		.amdhsa_system_sgpr_workgroup_id_x 1
		.amdhsa_system_sgpr_workgroup_id_y 0
		.amdhsa_system_sgpr_workgroup_id_z 0
		.amdhsa_system_sgpr_workgroup_info 0
		.amdhsa_system_vgpr_workitem_id 0
		.amdhsa_next_free_vgpr 1
		.amdhsa_next_free_sgpr 0
		.amdhsa_accum_offset 4
		.amdhsa_reserve_vcc 0
		.amdhsa_reserve_flat_scratch 0
		.amdhsa_float_round_mode_32 0
		.amdhsa_float_round_mode_16_64 0
		.amdhsa_float_denorm_mode_32 3
		.amdhsa_float_denorm_mode_16_64 3
		.amdhsa_dx10_clamp 1
		.amdhsa_ieee_mode 1
		.amdhsa_fp16_overflow 0
		.amdhsa_tg_split 0
		.amdhsa_exception_fp_ieee_invalid_op 0
		.amdhsa_exception_fp_denorm_src 0
		.amdhsa_exception_fp_ieee_div_zero 0
		.amdhsa_exception_fp_ieee_overflow 0
		.amdhsa_exception_fp_ieee_underflow 0
		.amdhsa_exception_fp_ieee_inexact 0
		.amdhsa_exception_int_div_zero 0
	.end_amdhsa_kernel
	.section	.text._ZN7rocprim17ROCPRIM_400000_NS6detail17trampoline_kernelINS0_14default_configENS1_25partition_config_selectorILNS1_17partition_subalgoE9EllbEEZZNS1_14partition_implILS5_9ELb0ES3_jPKlN6thrust23THRUST_200600_302600_NS17counting_iteratorIlNSB_11use_defaultESD_SD_EEPNS0_10empty_typeENS0_5tupleIJPlSF_EEENSH_IJSI_SG_EEENS0_18inequality_wrapperIN6hipcub16HIPCUB_304000_NS8EqualityEEESI_JSF_EEE10hipError_tPvRmT3_T4_T5_T6_T7_T9_mT8_P12ihipStream_tbDpT10_ENKUlT_T0_E_clISt17integral_constantIbLb0EES18_IbLb1EEEEDaS14_S15_EUlS14_E_NS1_11comp_targetILNS1_3genE8ELNS1_11target_archE1030ELNS1_3gpuE2ELNS1_3repE0EEENS1_30default_config_static_selectorELNS0_4arch9wavefront6targetE1EEEvT1_,"axG",@progbits,_ZN7rocprim17ROCPRIM_400000_NS6detail17trampoline_kernelINS0_14default_configENS1_25partition_config_selectorILNS1_17partition_subalgoE9EllbEEZZNS1_14partition_implILS5_9ELb0ES3_jPKlN6thrust23THRUST_200600_302600_NS17counting_iteratorIlNSB_11use_defaultESD_SD_EEPNS0_10empty_typeENS0_5tupleIJPlSF_EEENSH_IJSI_SG_EEENS0_18inequality_wrapperIN6hipcub16HIPCUB_304000_NS8EqualityEEESI_JSF_EEE10hipError_tPvRmT3_T4_T5_T6_T7_T9_mT8_P12ihipStream_tbDpT10_ENKUlT_T0_E_clISt17integral_constantIbLb0EES18_IbLb1EEEEDaS14_S15_EUlS14_E_NS1_11comp_targetILNS1_3genE8ELNS1_11target_archE1030ELNS1_3gpuE2ELNS1_3repE0EEENS1_30default_config_static_selectorELNS0_4arch9wavefront6targetE1EEEvT1_,comdat
.Lfunc_end75:
	.size	_ZN7rocprim17ROCPRIM_400000_NS6detail17trampoline_kernelINS0_14default_configENS1_25partition_config_selectorILNS1_17partition_subalgoE9EllbEEZZNS1_14partition_implILS5_9ELb0ES3_jPKlN6thrust23THRUST_200600_302600_NS17counting_iteratorIlNSB_11use_defaultESD_SD_EEPNS0_10empty_typeENS0_5tupleIJPlSF_EEENSH_IJSI_SG_EEENS0_18inequality_wrapperIN6hipcub16HIPCUB_304000_NS8EqualityEEESI_JSF_EEE10hipError_tPvRmT3_T4_T5_T6_T7_T9_mT8_P12ihipStream_tbDpT10_ENKUlT_T0_E_clISt17integral_constantIbLb0EES18_IbLb1EEEEDaS14_S15_EUlS14_E_NS1_11comp_targetILNS1_3genE8ELNS1_11target_archE1030ELNS1_3gpuE2ELNS1_3repE0EEENS1_30default_config_static_selectorELNS0_4arch9wavefront6targetE1EEEvT1_, .Lfunc_end75-_ZN7rocprim17ROCPRIM_400000_NS6detail17trampoline_kernelINS0_14default_configENS1_25partition_config_selectorILNS1_17partition_subalgoE9EllbEEZZNS1_14partition_implILS5_9ELb0ES3_jPKlN6thrust23THRUST_200600_302600_NS17counting_iteratorIlNSB_11use_defaultESD_SD_EEPNS0_10empty_typeENS0_5tupleIJPlSF_EEENSH_IJSI_SG_EEENS0_18inequality_wrapperIN6hipcub16HIPCUB_304000_NS8EqualityEEESI_JSF_EEE10hipError_tPvRmT3_T4_T5_T6_T7_T9_mT8_P12ihipStream_tbDpT10_ENKUlT_T0_E_clISt17integral_constantIbLb0EES18_IbLb1EEEEDaS14_S15_EUlS14_E_NS1_11comp_targetILNS1_3genE8ELNS1_11target_archE1030ELNS1_3gpuE2ELNS1_3repE0EEENS1_30default_config_static_selectorELNS0_4arch9wavefront6targetE1EEEvT1_
                                        ; -- End function
	.section	.AMDGPU.csdata,"",@progbits
; Kernel info:
; codeLenInByte = 0
; NumSgprs: 4
; NumVgprs: 0
; NumAgprs: 0
; TotalNumVgprs: 0
; ScratchSize: 0
; MemoryBound: 0
; FloatMode: 240
; IeeeMode: 1
; LDSByteSize: 0 bytes/workgroup (compile time only)
; SGPRBlocks: 0
; VGPRBlocks: 0
; NumSGPRsForWavesPerEU: 4
; NumVGPRsForWavesPerEU: 1
; AccumOffset: 4
; Occupancy: 8
; WaveLimiterHint : 0
; COMPUTE_PGM_RSRC2:SCRATCH_EN: 0
; COMPUTE_PGM_RSRC2:USER_SGPR: 6
; COMPUTE_PGM_RSRC2:TRAP_HANDLER: 0
; COMPUTE_PGM_RSRC2:TGID_X_EN: 1
; COMPUTE_PGM_RSRC2:TGID_Y_EN: 0
; COMPUTE_PGM_RSRC2:TGID_Z_EN: 0
; COMPUTE_PGM_RSRC2:TIDIG_COMP_CNT: 0
; COMPUTE_PGM_RSRC3_GFX90A:ACCUM_OFFSET: 0
; COMPUTE_PGM_RSRC3_GFX90A:TG_SPLIT: 0
	.section	.text._ZN2at6native12_GLOBAL__N_124krn_partials_per_segmentIiEEvPT_PKS3_PKll,"axG",@progbits,_ZN2at6native12_GLOBAL__N_124krn_partials_per_segmentIiEEvPT_PKS3_PKll,comdat
	.globl	_ZN2at6native12_GLOBAL__N_124krn_partials_per_segmentIiEEvPT_PKS3_PKll ; -- Begin function _ZN2at6native12_GLOBAL__N_124krn_partials_per_segmentIiEEvPT_PKS3_PKll
	.p2align	8
	.type	_ZN2at6native12_GLOBAL__N_124krn_partials_per_segmentIiEEvPT_PKS3_PKll,@function
_ZN2at6native12_GLOBAL__N_124krn_partials_per_segmentIiEEvPT_PKS3_PKll: ; @_ZN2at6native12_GLOBAL__N_124krn_partials_per_segmentIiEEvPT_PKS3_PKll
; %bb.0:
	s_load_dwordx8 s[8:15], s[4:5], 0x0
	s_load_dword s2, s[4:5], 0x2c
	s_waitcnt lgkmcnt(0)
	s_and_b32 s2, s2, 0xffff
	s_load_dwordx2 s[0:1], s[12:13], 0x0
	s_mul_i32 s6, s6, s2
	v_add_u32_e32 v2, s6, v0
	v_ashrrev_i32_e32 v3, 31, v2
	s_waitcnt lgkmcnt(0)
	v_cmp_gt_i64_e32 vcc, s[0:1], v[2:3]
	s_and_saveexec_b64 s[2:3], vcc
	s_cbranch_execz .LBB76_4
; %bb.1:
	v_lshlrev_b64 v[0:1], 2, v[2:3]
	v_mov_b32_e32 v5, s11
	v_add_co_u32_e32 v4, vcc, s10, v0
	v_addc_co_u32_e32 v5, vcc, v5, v1, vcc
	global_load_dword v6, v[4:5], off
	s_add_u32 s0, s0, -1
	s_addc_u32 s1, s1, -1
	v_cmp_ne_u64_e32 vcc, s[0:1], v[2:3]
	v_pk_mov_b32 v[2:3], s[14:15], s[14:15] op_sel:[0,1]
	s_and_saveexec_b64 s[0:1], vcc
	s_cbranch_execz .LBB76_3
; %bb.2:
	global_load_dword v2, v[4:5], off offset:4
	s_waitcnt vmcnt(0)
	v_ashrrev_i32_e32 v3, 31, v2
.LBB76_3:
	s_or_b64 exec, exec, s[0:1]
	s_add_u32 s0, 0, 0x99986000
	s_addc_u32 s1, 0, 0x59
	s_add_i32 s1, s1, 0x19999940
	s_mul_hi_u32 s5, s0, -10
	s_mul_i32 s6, s1, -10
	s_add_i32 s5, s5, s6
	s_mul_i32 s2, s0, -10
	s_sub_i32 s5, s5, s0
	s_mul_hi_u32 s3, s1, s2
	s_mul_i32 s4, s1, s2
	s_mul_i32 s7, s0, s5
	s_mul_hi_u32 s2, s0, s2
	s_mul_hi_u32 s6, s0, s5
	s_add_u32 s2, s2, s7
	s_addc_u32 s6, 0, s6
	s_add_u32 s2, s2, s4
	s_waitcnt vmcnt(0)
	v_ashrrev_i32_e32 v4, 31, v6
	v_sub_co_u32_e32 v2, vcc, v2, v6
	s_mul_hi_u32 s7, s1, s5
	s_addc_u32 s2, s6, s3
	v_subb_co_u32_e32 v3, vcc, v3, v4, vcc
	s_addc_u32 s3, s7, 0
	s_mul_i32 s4, s1, s5
	v_add_co_u32_e32 v2, vcc, 9, v2
	s_add_u32 s2, s2, s4
	v_addc_co_u32_e32 v3, vcc, 0, v3, vcc
	v_mov_b32_e32 v4, s2
	s_addc_u32 s3, 0, s3
	v_add_co_u32_e32 v4, vcc, s0, v4
	v_ashrrev_i32_e32 v6, 31, v3
	s_cmp_lg_u64 vcc, 0
	v_add_co_u32_e32 v2, vcc, v2, v6
	s_addc_u32 s2, s1, s3
	v_addc_co_u32_e32 v3, vcc, v3, v6, vcc
	v_xor_b32_e32 v8, v2, v6
	v_xor_b32_e32 v7, v3, v6
	v_mad_u64_u32 v[2:3], s[0:1], v8, s2, 0
	v_mul_hi_u32 v5, v8, v4
	v_add_co_u32_e32 v9, vcc, v5, v2
	v_addc_co_u32_e32 v10, vcc, 0, v3, vcc
	v_mad_u64_u32 v[4:5], s[0:1], v7, v4, 0
	v_add_co_u32_e32 v4, vcc, v9, v4
	v_mad_u64_u32 v[2:3], s[0:1], v7, s2, 0
	v_addc_co_u32_e32 v4, vcc, v10, v5, vcc
	v_addc_co_u32_e32 v3, vcc, 0, v3, vcc
	v_add_co_u32_e32 v9, vcc, v4, v2
	v_addc_co_u32_e32 v5, vcc, 0, v3, vcc
	v_mad_u64_u32 v[2:3], s[0:1], v9, 10, 0
	v_mov_b32_e32 v4, v3
	v_mad_u64_u32 v[4:5], s[0:1], v5, 10, v[4:5]
	v_sub_co_u32_e32 v2, vcc, v8, v2
	v_subb_co_u32_e32 v3, vcc, v7, v4, vcc
	v_subrev_co_u32_e32 v4, vcc, 10, v2
	v_subbrev_co_u32_e32 v5, vcc, 0, v3, vcc
	v_cmp_lt_u32_e32 vcc, 9, v4
	v_cndmask_b32_e64 v4, 0, -1, vcc
	v_cmp_eq_u32_e32 vcc, 0, v5
	v_cndmask_b32_e32 v4, -1, v4, vcc
	v_add_u32_e32 v5, 2, v9
	v_add_u32_e32 v7, 1, v9
	v_cmp_ne_u32_e32 vcc, 0, v4
	v_cndmask_b32_e32 v4, v7, v5, vcc
	v_cmp_lt_u32_e32 vcc, 9, v2
	v_cndmask_b32_e64 v2, 0, -1, vcc
	v_cmp_eq_u32_e32 vcc, 0, v3
	v_cndmask_b32_e32 v2, -1, v2, vcc
	v_cmp_ne_u32_e32 vcc, 0, v2
	v_cndmask_b32_e32 v2, v9, v4, vcc
	v_xor_b32_e32 v2, v2, v6
	v_mov_b32_e32 v3, s9
	v_add_co_u32_e32 v0, vcc, s8, v0
	v_sub_u32_e32 v2, v2, v6
	v_addc_co_u32_e32 v1, vcc, v3, v1, vcc
	global_store_dword v[0:1], v2, off
.LBB76_4:
	s_endpgm
	.section	.rodata,"a",@progbits
	.p2align	6, 0x0
	.amdhsa_kernel _ZN2at6native12_GLOBAL__N_124krn_partials_per_segmentIiEEvPT_PKS3_PKll
		.amdhsa_group_segment_fixed_size 0
		.amdhsa_private_segment_fixed_size 0
		.amdhsa_kernarg_size 288
		.amdhsa_user_sgpr_count 6
		.amdhsa_user_sgpr_private_segment_buffer 1
		.amdhsa_user_sgpr_dispatch_ptr 0
		.amdhsa_user_sgpr_queue_ptr 0
		.amdhsa_user_sgpr_kernarg_segment_ptr 1
		.amdhsa_user_sgpr_dispatch_id 0
		.amdhsa_user_sgpr_flat_scratch_init 0
		.amdhsa_user_sgpr_kernarg_preload_length 0
		.amdhsa_user_sgpr_kernarg_preload_offset 0
		.amdhsa_user_sgpr_private_segment_size 0
		.amdhsa_uses_dynamic_stack 0
		.amdhsa_system_sgpr_private_segment_wavefront_offset 0
		.amdhsa_system_sgpr_workgroup_id_x 1
		.amdhsa_system_sgpr_workgroup_id_y 0
		.amdhsa_system_sgpr_workgroup_id_z 0
		.amdhsa_system_sgpr_workgroup_info 0
		.amdhsa_system_vgpr_workitem_id 0
		.amdhsa_next_free_vgpr 11
		.amdhsa_next_free_sgpr 16
		.amdhsa_accum_offset 12
		.amdhsa_reserve_vcc 1
		.amdhsa_reserve_flat_scratch 0
		.amdhsa_float_round_mode_32 0
		.amdhsa_float_round_mode_16_64 0
		.amdhsa_float_denorm_mode_32 3
		.amdhsa_float_denorm_mode_16_64 3
		.amdhsa_dx10_clamp 1
		.amdhsa_ieee_mode 1
		.amdhsa_fp16_overflow 0
		.amdhsa_tg_split 0
		.amdhsa_exception_fp_ieee_invalid_op 0
		.amdhsa_exception_fp_denorm_src 0
		.amdhsa_exception_fp_ieee_div_zero 0
		.amdhsa_exception_fp_ieee_overflow 0
		.amdhsa_exception_fp_ieee_underflow 0
		.amdhsa_exception_fp_ieee_inexact 0
		.amdhsa_exception_int_div_zero 0
	.end_amdhsa_kernel
	.section	.text._ZN2at6native12_GLOBAL__N_124krn_partials_per_segmentIiEEvPT_PKS3_PKll,"axG",@progbits,_ZN2at6native12_GLOBAL__N_124krn_partials_per_segmentIiEEvPT_PKS3_PKll,comdat
.Lfunc_end76:
	.size	_ZN2at6native12_GLOBAL__N_124krn_partials_per_segmentIiEEvPT_PKS3_PKll, .Lfunc_end76-_ZN2at6native12_GLOBAL__N_124krn_partials_per_segmentIiEEvPT_PKS3_PKll
                                        ; -- End function
	.section	.AMDGPU.csdata,"",@progbits
; Kernel info:
; codeLenInByte = 492
; NumSgprs: 20
; NumVgprs: 11
; NumAgprs: 0
; TotalNumVgprs: 11
; ScratchSize: 0
; MemoryBound: 0
; FloatMode: 240
; IeeeMode: 1
; LDSByteSize: 0 bytes/workgroup (compile time only)
; SGPRBlocks: 2
; VGPRBlocks: 1
; NumSGPRsForWavesPerEU: 20
; NumVGPRsForWavesPerEU: 11
; AccumOffset: 12
; Occupancy: 8
; WaveLimiterHint : 0
; COMPUTE_PGM_RSRC2:SCRATCH_EN: 0
; COMPUTE_PGM_RSRC2:USER_SGPR: 6
; COMPUTE_PGM_RSRC2:TRAP_HANDLER: 0
; COMPUTE_PGM_RSRC2:TGID_X_EN: 1
; COMPUTE_PGM_RSRC2:TGID_Y_EN: 0
; COMPUTE_PGM_RSRC2:TGID_Z_EN: 0
; COMPUTE_PGM_RSRC2:TIDIG_COMP_CNT: 0
; COMPUTE_PGM_RSRC3_GFX90A:ACCUM_OFFSET: 2
; COMPUTE_PGM_RSRC3_GFX90A:TG_SPLIT: 0
	.section	.text._ZN2at6native12_GLOBAL__N_131compute_num_of_partial_segmentsIiEEvPKT_S5_PKlPl,"axG",@progbits,_ZN2at6native12_GLOBAL__N_131compute_num_of_partial_segmentsIiEEvPKT_S5_PKlPl,comdat
	.globl	_ZN2at6native12_GLOBAL__N_131compute_num_of_partial_segmentsIiEEvPKT_S5_PKlPl ; -- Begin function _ZN2at6native12_GLOBAL__N_131compute_num_of_partial_segmentsIiEEvPKT_S5_PKlPl
	.p2align	8
	.type	_ZN2at6native12_GLOBAL__N_131compute_num_of_partial_segmentsIiEEvPKT_S5_PKlPl,@function
_ZN2at6native12_GLOBAL__N_131compute_num_of_partial_segmentsIiEEvPKT_S5_PKlPl: ; @_ZN2at6native12_GLOBAL__N_131compute_num_of_partial_segmentsIiEEvPKT_S5_PKlPl
; %bb.0:
	s_load_dwordx8 s[0:7], s[4:5], 0x0
	v_mov_b32_e32 v2, 0
	s_waitcnt lgkmcnt(0)
	s_load_dwordx2 s[4:5], s[4:5], 0x0
	s_waitcnt lgkmcnt(0)
	s_lshl_b64 s[4:5], s[4:5], 2
	s_add_u32 s0, s0, s4
	s_addc_u32 s1, s1, s5
	s_add_u32 s0, s0, -4
	s_addc_u32 s1, s1, -1
	s_load_dword s8, s[0:1], 0x0
	s_add_u32 s0, s2, s4
	s_addc_u32 s1, s3, s5
	s_add_u32 s0, s0, -4
	s_addc_u32 s1, s1, -1
	s_load_dword s0, s[0:1], 0x0
	s_waitcnt lgkmcnt(0)
	s_add_i32 s0, s0, s8
	s_ashr_i32 s1, s0, 31
	v_mov_b32_e32 v0, s0
	v_mov_b32_e32 v1, s1
	global_store_dwordx2 v2, v[0:1], s[6:7]
	s_endpgm
	.section	.rodata,"a",@progbits
	.p2align	6, 0x0
	.amdhsa_kernel _ZN2at6native12_GLOBAL__N_131compute_num_of_partial_segmentsIiEEvPKT_S5_PKlPl
		.amdhsa_group_segment_fixed_size 0
		.amdhsa_private_segment_fixed_size 0
		.amdhsa_kernarg_size 32
		.amdhsa_user_sgpr_count 6
		.amdhsa_user_sgpr_private_segment_buffer 1
		.amdhsa_user_sgpr_dispatch_ptr 0
		.amdhsa_user_sgpr_queue_ptr 0
		.amdhsa_user_sgpr_kernarg_segment_ptr 1
		.amdhsa_user_sgpr_dispatch_id 0
		.amdhsa_user_sgpr_flat_scratch_init 0
		.amdhsa_user_sgpr_kernarg_preload_length 0
		.amdhsa_user_sgpr_kernarg_preload_offset 0
		.amdhsa_user_sgpr_private_segment_size 0
		.amdhsa_uses_dynamic_stack 0
		.amdhsa_system_sgpr_private_segment_wavefront_offset 0
		.amdhsa_system_sgpr_workgroup_id_x 1
		.amdhsa_system_sgpr_workgroup_id_y 0
		.amdhsa_system_sgpr_workgroup_id_z 0
		.amdhsa_system_sgpr_workgroup_info 0
		.amdhsa_system_vgpr_workitem_id 0
		.amdhsa_next_free_vgpr 3
		.amdhsa_next_free_sgpr 9
		.amdhsa_accum_offset 4
		.amdhsa_reserve_vcc 0
		.amdhsa_reserve_flat_scratch 0
		.amdhsa_float_round_mode_32 0
		.amdhsa_float_round_mode_16_64 0
		.amdhsa_float_denorm_mode_32 3
		.amdhsa_float_denorm_mode_16_64 3
		.amdhsa_dx10_clamp 1
		.amdhsa_ieee_mode 1
		.amdhsa_fp16_overflow 0
		.amdhsa_tg_split 0
		.amdhsa_exception_fp_ieee_invalid_op 0
		.amdhsa_exception_fp_denorm_src 0
		.amdhsa_exception_fp_ieee_div_zero 0
		.amdhsa_exception_fp_ieee_overflow 0
		.amdhsa_exception_fp_ieee_underflow 0
		.amdhsa_exception_fp_ieee_inexact 0
		.amdhsa_exception_int_div_zero 0
	.end_amdhsa_kernel
	.section	.text._ZN2at6native12_GLOBAL__N_131compute_num_of_partial_segmentsIiEEvPKT_S5_PKlPl,"axG",@progbits,_ZN2at6native12_GLOBAL__N_131compute_num_of_partial_segmentsIiEEvPKT_S5_PKlPl,comdat
.Lfunc_end77:
	.size	_ZN2at6native12_GLOBAL__N_131compute_num_of_partial_segmentsIiEEvPKT_S5_PKlPl, .Lfunc_end77-_ZN2at6native12_GLOBAL__N_131compute_num_of_partial_segmentsIiEEvPKT_S5_PKlPl
                                        ; -- End function
	.section	.AMDGPU.csdata,"",@progbits
; Kernel info:
; codeLenInByte = 112
; NumSgprs: 13
; NumVgprs: 3
; NumAgprs: 0
; TotalNumVgprs: 3
; ScratchSize: 0
; MemoryBound: 1
; FloatMode: 240
; IeeeMode: 1
; LDSByteSize: 0 bytes/workgroup (compile time only)
; SGPRBlocks: 1
; VGPRBlocks: 0
; NumSGPRsForWavesPerEU: 13
; NumVGPRsForWavesPerEU: 3
; AccumOffset: 4
; Occupancy: 8
; WaveLimiterHint : 1
; COMPUTE_PGM_RSRC2:SCRATCH_EN: 0
; COMPUTE_PGM_RSRC2:USER_SGPR: 6
; COMPUTE_PGM_RSRC2:TRAP_HANDLER: 0
; COMPUTE_PGM_RSRC2:TGID_X_EN: 1
; COMPUTE_PGM_RSRC2:TGID_Y_EN: 0
; COMPUTE_PGM_RSRC2:TGID_Z_EN: 0
; COMPUTE_PGM_RSRC2:TIDIG_COMP_CNT: 0
; COMPUTE_PGM_RSRC3_GFX90A:ACCUM_OFFSET: 0
; COMPUTE_PGM_RSRC3_GFX90A:TG_SPLIT: 0
	.section	.text._ZN2at6native12_GLOBAL__N_126krn_partial_segment_offsetIiEEvPT_PKS3_S6_S6_PKl,"axG",@progbits,_ZN2at6native12_GLOBAL__N_126krn_partial_segment_offsetIiEEvPT_PKS3_S6_S6_PKl,comdat
	.globl	_ZN2at6native12_GLOBAL__N_126krn_partial_segment_offsetIiEEvPT_PKS3_S6_S6_PKl ; -- Begin function _ZN2at6native12_GLOBAL__N_126krn_partial_segment_offsetIiEEvPT_PKS3_S6_S6_PKl
	.p2align	8
	.type	_ZN2at6native12_GLOBAL__N_126krn_partial_segment_offsetIiEEvPT_PKS3_S6_S6_PKl,@function
_ZN2at6native12_GLOBAL__N_126krn_partial_segment_offsetIiEEvPT_PKS3_S6_S6_PKl: ; @_ZN2at6native12_GLOBAL__N_126krn_partial_segment_offsetIiEEvPT_PKS3_S6_S6_PKl
; %bb.0:
	s_load_dwordx2 s[0:1], s[4:5], 0x20
	s_load_dword s2, s[4:5], 0x34
	s_waitcnt lgkmcnt(0)
	s_and_b32 s2, s2, 0xffff
	s_load_dwordx2 s[0:1], s[0:1], 0x0
	s_mul_i32 s6, s6, s2
	v_add_u32_e32 v0, s6, v0
	v_ashrrev_i32_e32 v1, 31, v0
	s_waitcnt lgkmcnt(0)
	v_cmp_gt_i64_e32 vcc, s[0:1], v[0:1]
	s_and_saveexec_b64 s[0:1], vcc
	s_cbranch_execz .LBB78_9
; %bb.1:
	s_load_dwordx8 s[4:11], s[4:5], 0x0
	v_lshlrev_b64 v[4:5], 2, v[0:1]
	s_waitcnt lgkmcnt(0)
	v_mov_b32_e32 v1, s7
	v_add_co_u32_e32 v0, vcc, s6, v4
	v_addc_co_u32_e32 v1, vcc, v1, v5, vcc
	global_load_dword v0, v[0:1], off
	s_waitcnt vmcnt(0)
	v_cmp_lt_i32_e32 vcc, 0, v0
	s_and_b64 exec, exec, vcc
	s_cbranch_execz .LBB78_9
; %bb.2:
	v_mov_b32_e32 v1, s11
	v_add_co_u32_e32 v2, vcc, s10, v4
	v_addc_co_u32_e32 v3, vcc, v1, v5, vcc
	v_mov_b32_e32 v1, s9
	v_add_co_u32_e32 v4, vcc, s8, v4
	v_addc_co_u32_e32 v5, vcc, v1, v5, vcc
	global_load_dword v2, v[2:3], off
	v_ashrrev_i32_e32 v1, 31, v0
	global_load_dword v4, v[4:5], off
	s_mov_b32 s8, 1
	v_cmp_ne_u32_e32 vcc, 1, v0
	s_mov_b64 s[0:1], -1
	v_pk_mov_b32 v[6:7], 0, 0
	s_and_saveexec_b64 s[2:3], vcc
	s_cbranch_execz .LBB78_6
; %bb.3:
	v_and_b32_e32 v6, 0x7ffffffe, v0
	v_mov_b32_e32 v7, 0
	s_mov_b32 s9, 0
	s_mov_b64 s[6:7], 0
	s_waitcnt vmcnt(1)
	v_mov_b32_e32 v8, v2
	v_mov_b32_e32 v3, s5
	s_waitcnt vmcnt(0)
	v_mov_b32_e32 v10, v4
	v_pk_mov_b32 v[12:13], v[6:7], v[6:7] op_sel:[0,1]
.LBB78_4:                               ; =>This Inner Loop Header: Depth=1
	v_mad_u64_u32 v[14:15], s[0:1], s8, 10, v[8:9]
	v_mad_u64_u32 v[16:17], s[0:1], s9, 10, v[2:3]
	v_ashrrev_i32_e32 v11, 31, v10
	v_add_co_u32_e32 v12, vcc, -2, v12
	v_addc_co_u32_e32 v13, vcc, -1, v13, vcc
	v_mov_b32_e32 v17, v14
	v_lshlrev_b64 v[14:15], 2, v[10:11]
	s_add_i32 s9, s9, 2
	s_add_i32 s8, s8, 2
	v_cmp_eq_u64_e32 vcc, 0, v[12:13]
	v_add_co_u32_e64 v14, s[0:1], s4, v14
	v_add_u32_e32 v10, 2, v10
	v_addc_co_u32_e64 v15, s[0:1], v3, v15, s[0:1]
	s_or_b64 s[6:7], vcc, s[6:7]
	global_store_dwordx2 v[14:15], v[16:17], off
	s_andn2_b64 exec, exec, s[6:7]
	s_cbranch_execnz .LBB78_4
; %bb.5:
	s_or_b64 exec, exec, s[6:7]
	v_cmp_ne_u64_e32 vcc, v[6:7], v[0:1]
	v_add_u32_e32 v4, v4, v6
	s_orn2_b64 s[0:1], vcc, exec
.LBB78_6:
	s_or_b64 exec, exec, s[2:3]
	s_and_b64 exec, exec, s[0:1]
	s_cbranch_execz .LBB78_9
; %bb.7:
	v_sub_co_u32_e32 v0, vcc, v0, v6
	s_waitcnt vmcnt(0)
	v_ashrrev_i32_e32 v5, 31, v4
	v_subb_co_u32_e32 v1, vcc, v1, v7, vcc
	v_mad_u64_u32 v[2:3], s[0:1], v6, 10, v[2:3]
	v_lshlrev_b64 v[4:5], 2, v[4:5]
	v_mov_b32_e32 v3, s5
	v_add_co_u32_e32 v4, vcc, s4, v4
	v_addc_co_u32_e32 v5, vcc, v3, v5, vcc
	s_mov_b64 s[2:3], 0
.LBB78_8:                               ; =>This Inner Loop Header: Depth=1
	v_add_co_u32_e32 v0, vcc, -1, v0
	v_addc_co_u32_e32 v1, vcc, -1, v1, vcc
	global_store_dword v[4:5], v2, off
	v_add_co_u32_e32 v4, vcc, 4, v4
	v_cmp_eq_u64_e64 s[0:1], 0, v[0:1]
	v_add_u32_e32 v2, 10, v2
	s_or_b64 s[2:3], s[0:1], s[2:3]
	v_addc_co_u32_e32 v5, vcc, 0, v5, vcc
	s_andn2_b64 exec, exec, s[2:3]
	s_cbranch_execnz .LBB78_8
.LBB78_9:
	s_endpgm
	.section	.rodata,"a",@progbits
	.p2align	6, 0x0
	.amdhsa_kernel _ZN2at6native12_GLOBAL__N_126krn_partial_segment_offsetIiEEvPT_PKS3_S6_S6_PKl
		.amdhsa_group_segment_fixed_size 0
		.amdhsa_private_segment_fixed_size 0
		.amdhsa_kernarg_size 296
		.amdhsa_user_sgpr_count 6
		.amdhsa_user_sgpr_private_segment_buffer 1
		.amdhsa_user_sgpr_dispatch_ptr 0
		.amdhsa_user_sgpr_queue_ptr 0
		.amdhsa_user_sgpr_kernarg_segment_ptr 1
		.amdhsa_user_sgpr_dispatch_id 0
		.amdhsa_user_sgpr_flat_scratch_init 0
		.amdhsa_user_sgpr_kernarg_preload_length 0
		.amdhsa_user_sgpr_kernarg_preload_offset 0
		.amdhsa_user_sgpr_private_segment_size 0
		.amdhsa_uses_dynamic_stack 0
		.amdhsa_system_sgpr_private_segment_wavefront_offset 0
		.amdhsa_system_sgpr_workgroup_id_x 1
		.amdhsa_system_sgpr_workgroup_id_y 0
		.amdhsa_system_sgpr_workgroup_id_z 0
		.amdhsa_system_sgpr_workgroup_info 0
		.amdhsa_system_vgpr_workitem_id 0
		.amdhsa_next_free_vgpr 18
		.amdhsa_next_free_sgpr 12
		.amdhsa_accum_offset 20
		.amdhsa_reserve_vcc 1
		.amdhsa_reserve_flat_scratch 0
		.amdhsa_float_round_mode_32 0
		.amdhsa_float_round_mode_16_64 0
		.amdhsa_float_denorm_mode_32 3
		.amdhsa_float_denorm_mode_16_64 3
		.amdhsa_dx10_clamp 1
		.amdhsa_ieee_mode 1
		.amdhsa_fp16_overflow 0
		.amdhsa_tg_split 0
		.amdhsa_exception_fp_ieee_invalid_op 0
		.amdhsa_exception_fp_denorm_src 0
		.amdhsa_exception_fp_ieee_div_zero 0
		.amdhsa_exception_fp_ieee_overflow 0
		.amdhsa_exception_fp_ieee_underflow 0
		.amdhsa_exception_fp_ieee_inexact 0
		.amdhsa_exception_int_div_zero 0
	.end_amdhsa_kernel
	.section	.text._ZN2at6native12_GLOBAL__N_126krn_partial_segment_offsetIiEEvPT_PKS3_S6_S6_PKl,"axG",@progbits,_ZN2at6native12_GLOBAL__N_126krn_partial_segment_offsetIiEEvPT_PKS3_S6_S6_PKl,comdat
.Lfunc_end78:
	.size	_ZN2at6native12_GLOBAL__N_126krn_partial_segment_offsetIiEEvPT_PKS3_S6_S6_PKl, .Lfunc_end78-_ZN2at6native12_GLOBAL__N_126krn_partial_segment_offsetIiEEvPT_PKS3_S6_S6_PKl
                                        ; -- End function
	.section	.AMDGPU.csdata,"",@progbits
; Kernel info:
; codeLenInByte = 460
; NumSgprs: 16
; NumVgprs: 18
; NumAgprs: 0
; TotalNumVgprs: 18
; ScratchSize: 0
; MemoryBound: 0
; FloatMode: 240
; IeeeMode: 1
; LDSByteSize: 0 bytes/workgroup (compile time only)
; SGPRBlocks: 1
; VGPRBlocks: 2
; NumSGPRsForWavesPerEU: 16
; NumVGPRsForWavesPerEU: 18
; AccumOffset: 20
; Occupancy: 8
; WaveLimiterHint : 0
; COMPUTE_PGM_RSRC2:SCRATCH_EN: 0
; COMPUTE_PGM_RSRC2:USER_SGPR: 6
; COMPUTE_PGM_RSRC2:TRAP_HANDLER: 0
; COMPUTE_PGM_RSRC2:TGID_X_EN: 1
; COMPUTE_PGM_RSRC2:TGID_Y_EN: 0
; COMPUTE_PGM_RSRC2:TGID_Z_EN: 0
; COMPUTE_PGM_RSRC2:TIDIG_COMP_CNT: 0
; COMPUTE_PGM_RSRC3_GFX90A:ACCUM_OFFSET: 4
; COMPUTE_PGM_RSRC3_GFX90A:TG_SPLIT: 0
	.section	.text._ZN2at6native12_GLOBAL__N_126krn_partial_to_segment_idxIiEEvPT_PKS3_S6_PKl,"axG",@progbits,_ZN2at6native12_GLOBAL__N_126krn_partial_to_segment_idxIiEEvPT_PKS3_S6_PKl,comdat
	.globl	_ZN2at6native12_GLOBAL__N_126krn_partial_to_segment_idxIiEEvPT_PKS3_S6_PKl ; -- Begin function _ZN2at6native12_GLOBAL__N_126krn_partial_to_segment_idxIiEEvPT_PKS3_S6_PKl
	.p2align	8
	.type	_ZN2at6native12_GLOBAL__N_126krn_partial_to_segment_idxIiEEvPT_PKS3_S6_PKl,@function
_ZN2at6native12_GLOBAL__N_126krn_partial_to_segment_idxIiEEvPT_PKS3_S6_PKl: ; @_ZN2at6native12_GLOBAL__N_126krn_partial_to_segment_idxIiEEvPT_PKS3_S6_PKl
; %bb.0:
	s_load_dwordx8 s[8:15], s[4:5], 0x0
	s_load_dword s2, s[4:5], 0x2c
	s_waitcnt lgkmcnt(0)
	s_and_b32 s2, s2, 0xffff
	s_load_dwordx2 s[0:1], s[14:15], 0x0
	s_mul_i32 s6, s6, s2
	v_add_u32_e32 v0, s6, v0
	v_ashrrev_i32_e32 v1, 31, v0
	s_waitcnt lgkmcnt(0)
	v_cmp_gt_i64_e32 vcc, s[0:1], v[0:1]
	s_and_saveexec_b64 s[0:1], vcc
	s_cbranch_execz .LBB79_9
; %bb.1:
	v_lshlrev_b64 v[2:3], 2, v[0:1]
	v_mov_b32_e32 v1, s11
	v_add_co_u32_e32 v4, vcc, s10, v2
	v_addc_co_u32_e32 v5, vcc, v1, v3, vcc
	global_load_dword v6, v[4:5], off
	s_waitcnt vmcnt(0)
	v_cmp_lt_i32_e32 vcc, 0, v6
	s_and_b64 exec, exec, vcc
	s_cbranch_execz .LBB79_9
; %bb.2:
	v_mov_b32_e32 v1, s13
	v_add_co_u32_e32 v2, vcc, s12, v2
	v_addc_co_u32_e32 v3, vcc, v1, v3, vcc
	global_load_dword v2, v[2:3], off
	v_cmp_ne_u32_e32 vcc, 1, v6
	s_mov_b64 s[2:3], -1
	v_mov_b32_e32 v3, 0
	s_and_saveexec_b64 s[0:1], vcc
	s_cbranch_execz .LBB79_6
; %bb.3:
	v_and_b32_e32 v3, 0x7ffffffe, v6
	v_mov_b32_e32 v1, v0
	s_mov_b64 s[2:3], 0
	v_mov_b32_e32 v7, s9
	s_waitcnt vmcnt(0)
	v_mov_b32_e32 v4, v2
	v_mov_b32_e32 v8, v3
.LBB79_4:                               ; =>This Inner Loop Header: Depth=1
	v_ashrrev_i32_e32 v5, 31, v4
	v_lshlrev_b64 v[10:11], 2, v[4:5]
	v_add_co_u32_e32 v10, vcc, s8, v10
	v_addc_co_u32_e32 v11, vcc, v7, v11, vcc
	v_add_u32_e32 v8, -2, v8
	v_cmp_eq_u32_e32 vcc, 0, v8
	s_or_b64 s[2:3], vcc, s[2:3]
	v_add_u32_e32 v4, 2, v4
	global_store_dwordx2 v[10:11], v[0:1], off
	s_andn2_b64 exec, exec, s[2:3]
	s_cbranch_execnz .LBB79_4
; %bb.5:
	s_or_b64 exec, exec, s[2:3]
	v_cmp_ne_u32_e32 vcc, v6, v3
	v_add_u32_e32 v2, v2, v3
	s_orn2_b64 s[2:3], vcc, exec
.LBB79_6:
	s_or_b64 exec, exec, s[0:1]
	s_and_b64 exec, exec, s[2:3]
	s_cbranch_execz .LBB79_9
; %bb.7:
	v_sub_u32_e32 v1, v6, v3
	s_waitcnt vmcnt(0)
	v_ashrrev_i32_e32 v3, 31, v2
	v_lshlrev_b64 v[2:3], 2, v[2:3]
	v_mov_b32_e32 v4, s9
	v_add_co_u32_e32 v2, vcc, s8, v2
	v_addc_co_u32_e32 v3, vcc, v4, v3, vcc
	s_mov_b64 s[2:3], 0
.LBB79_8:                               ; =>This Inner Loop Header: Depth=1
	v_add_u32_e32 v1, -1, v1
	global_store_dword v[2:3], v0, off
	v_add_co_u32_e32 v2, vcc, 4, v2
	v_cmp_eq_u32_e64 s[0:1], 0, v1
	s_or_b64 s[2:3], s[0:1], s[2:3]
	v_addc_co_u32_e32 v3, vcc, 0, v3, vcc
	s_andn2_b64 exec, exec, s[2:3]
	s_cbranch_execnz .LBB79_8
.LBB79_9:
	s_endpgm
	.section	.rodata,"a",@progbits
	.p2align	6, 0x0
	.amdhsa_kernel _ZN2at6native12_GLOBAL__N_126krn_partial_to_segment_idxIiEEvPT_PKS3_S6_PKl
		.amdhsa_group_segment_fixed_size 0
		.amdhsa_private_segment_fixed_size 0
		.amdhsa_kernarg_size 288
		.amdhsa_user_sgpr_count 6
		.amdhsa_user_sgpr_private_segment_buffer 1
		.amdhsa_user_sgpr_dispatch_ptr 0
		.amdhsa_user_sgpr_queue_ptr 0
		.amdhsa_user_sgpr_kernarg_segment_ptr 1
		.amdhsa_user_sgpr_dispatch_id 0
		.amdhsa_user_sgpr_flat_scratch_init 0
		.amdhsa_user_sgpr_kernarg_preload_length 0
		.amdhsa_user_sgpr_kernarg_preload_offset 0
		.amdhsa_user_sgpr_private_segment_size 0
		.amdhsa_uses_dynamic_stack 0
		.amdhsa_system_sgpr_private_segment_wavefront_offset 0
		.amdhsa_system_sgpr_workgroup_id_x 1
		.amdhsa_system_sgpr_workgroup_id_y 0
		.amdhsa_system_sgpr_workgroup_id_z 0
		.amdhsa_system_sgpr_workgroup_info 0
		.amdhsa_system_vgpr_workitem_id 0
		.amdhsa_next_free_vgpr 12
		.amdhsa_next_free_sgpr 16
		.amdhsa_accum_offset 12
		.amdhsa_reserve_vcc 1
		.amdhsa_reserve_flat_scratch 0
		.amdhsa_float_round_mode_32 0
		.amdhsa_float_round_mode_16_64 0
		.amdhsa_float_denorm_mode_32 3
		.amdhsa_float_denorm_mode_16_64 3
		.amdhsa_dx10_clamp 1
		.amdhsa_ieee_mode 1
		.amdhsa_fp16_overflow 0
		.amdhsa_tg_split 0
		.amdhsa_exception_fp_ieee_invalid_op 0
		.amdhsa_exception_fp_denorm_src 0
		.amdhsa_exception_fp_ieee_div_zero 0
		.amdhsa_exception_fp_ieee_overflow 0
		.amdhsa_exception_fp_ieee_underflow 0
		.amdhsa_exception_fp_ieee_inexact 0
		.amdhsa_exception_int_div_zero 0
	.end_amdhsa_kernel
	.section	.text._ZN2at6native12_GLOBAL__N_126krn_partial_to_segment_idxIiEEvPT_PKS3_S6_PKl,"axG",@progbits,_ZN2at6native12_GLOBAL__N_126krn_partial_to_segment_idxIiEEvPT_PKS3_S6_PKl,comdat
.Lfunc_end79:
	.size	_ZN2at6native12_GLOBAL__N_126krn_partial_to_segment_idxIiEEvPT_PKS3_S6_PKl, .Lfunc_end79-_ZN2at6native12_GLOBAL__N_126krn_partial_to_segment_idxIiEEvPT_PKS3_S6_PKl
                                        ; -- End function
	.section	.AMDGPU.csdata,"",@progbits
; Kernel info:
; codeLenInByte = 340
; NumSgprs: 20
; NumVgprs: 12
; NumAgprs: 0
; TotalNumVgprs: 12
; ScratchSize: 0
; MemoryBound: 0
; FloatMode: 240
; IeeeMode: 1
; LDSByteSize: 0 bytes/workgroup (compile time only)
; SGPRBlocks: 2
; VGPRBlocks: 1
; NumSGPRsForWavesPerEU: 20
; NumVGPRsForWavesPerEU: 12
; AccumOffset: 12
; Occupancy: 8
; WaveLimiterHint : 0
; COMPUTE_PGM_RSRC2:SCRATCH_EN: 0
; COMPUTE_PGM_RSRC2:USER_SGPR: 6
; COMPUTE_PGM_RSRC2:TRAP_HANDLER: 0
; COMPUTE_PGM_RSRC2:TGID_X_EN: 1
; COMPUTE_PGM_RSRC2:TGID_Y_EN: 0
; COMPUTE_PGM_RSRC2:TGID_Z_EN: 0
; COMPUTE_PGM_RSRC2:TIDIG_COMP_CNT: 0
; COMPUTE_PGM_RSRC3_GFX90A:ACCUM_OFFSET: 2
; COMPUTE_PGM_RSRC3_GFX90A:TG_SPLIT: 0
	.section	.text._ZN2at6native12_GLOBAL__N_137compute_grad_weight_atomic_accumulateIddiEEvPKT1_PKT_S5_llS5_PKlS5_S5_S5_PT0_ll,"axG",@progbits,_ZN2at6native12_GLOBAL__N_137compute_grad_weight_atomic_accumulateIddiEEvPKT1_PKT_S5_llS5_PKlS5_S5_S5_PT0_ll,comdat
	.globl	_ZN2at6native12_GLOBAL__N_137compute_grad_weight_atomic_accumulateIddiEEvPKT1_PKT_S5_llS5_PKlS5_S5_S5_PT0_ll ; -- Begin function _ZN2at6native12_GLOBAL__N_137compute_grad_weight_atomic_accumulateIddiEEvPKT1_PKT_S5_llS5_PKlS5_S5_S5_PT0_ll
	.p2align	8
	.type	_ZN2at6native12_GLOBAL__N_137compute_grad_weight_atomic_accumulateIddiEEvPKT1_PKT_S5_llS5_PKlS5_S5_S5_PT0_ll,@function
_ZN2at6native12_GLOBAL__N_137compute_grad_weight_atomic_accumulateIddiEEvPKT1_PKT_S5_llS5_PKlS5_S5_S5_PT0_ll: ; @_ZN2at6native12_GLOBAL__N_137compute_grad_weight_atomic_accumulateIddiEEvPKT1_PKT_S5_llS5_PKlS5_S5_S5_PT0_ll
; %bb.0:
	s_load_dword s0, s[4:5], 0x74
	s_load_dwordx2 s[2:3], s[4:5], 0x60
	v_mov_b32_e32 v2, 0
	s_waitcnt lgkmcnt(0)
	s_and_b32 s0, s0, 0xffff
	s_mul_i32 s6, s6, s0
	v_add_u32_e32 v0, s6, v0
	v_ashrrev_i32_e32 v1, 31, v0
	v_or_b32_e32 v3, s3, v1
	v_cmp_ne_u64_e32 vcc, 0, v[2:3]
                                        ; implicit-def: $vgpr2_vgpr3
	s_and_saveexec_b64 s[0:1], vcc
	s_xor_b64 s[6:7], exec, s[0:1]
	s_cbranch_execz .LBB80_2
; %bb.1:
	s_ashr_i32 s8, s3, 31
	s_add_u32 s0, s2, s8
	s_mov_b32 s9, s8
	s_addc_u32 s1, s3, s8
	s_xor_b64 s[10:11], s[0:1], s[8:9]
	v_cvt_f32_u32_e32 v2, s10
	v_cvt_f32_u32_e32 v3, s11
	s_sub_u32 s0, 0, s10
	s_subb_u32 s1, 0, s11
	v_madmk_f32 v2, v3, 0x4f800000, v2
	v_rcp_f32_e32 v2, v2
	v_mul_f32_e32 v2, 0x5f7ffffc, v2
	v_mul_f32_e32 v3, 0x2f800000, v2
	v_trunc_f32_e32 v3, v3
	v_madmk_f32 v2, v3, 0xcf800000, v2
	v_cvt_u32_f32_e32 v3, v3
	v_cvt_u32_f32_e32 v2, v2
	v_mul_lo_u32 v4, s0, v3
	v_mul_hi_u32 v6, s0, v2
	v_mul_lo_u32 v5, s1, v2
	v_add_u32_e32 v4, v6, v4
	v_mul_lo_u32 v7, s0, v2
	v_add_u32_e32 v4, v4, v5
	v_mul_lo_u32 v6, v2, v4
	v_mul_hi_u32 v8, v2, v7
	v_mul_hi_u32 v5, v2, v4
	v_add_co_u32_e32 v6, vcc, v8, v6
	v_addc_co_u32_e32 v5, vcc, 0, v5, vcc
	v_mul_hi_u32 v9, v3, v7
	v_mul_lo_u32 v7, v3, v7
	v_add_co_u32_e32 v6, vcc, v6, v7
	v_mul_hi_u32 v8, v3, v4
	v_addc_co_u32_e32 v5, vcc, v5, v9, vcc
	v_addc_co_u32_e32 v6, vcc, 0, v8, vcc
	v_mul_lo_u32 v4, v3, v4
	v_add_co_u32_e32 v4, vcc, v5, v4
	v_addc_co_u32_e32 v5, vcc, 0, v6, vcc
	v_add_co_u32_e32 v2, vcc, v2, v4
	v_addc_co_u32_e32 v3, vcc, v3, v5, vcc
	v_mul_lo_u32 v4, s0, v3
	v_mul_hi_u32 v5, s0, v2
	v_add_u32_e32 v4, v5, v4
	v_mul_lo_u32 v5, s1, v2
	v_add_u32_e32 v4, v4, v5
	v_mul_lo_u32 v6, s0, v2
	v_mul_hi_u32 v7, v3, v6
	v_mul_lo_u32 v8, v3, v6
	v_mul_lo_u32 v10, v2, v4
	v_mul_hi_u32 v6, v2, v6
	v_mul_hi_u32 v9, v2, v4
	v_add_co_u32_e32 v6, vcc, v6, v10
	v_addc_co_u32_e32 v9, vcc, 0, v9, vcc
	v_add_co_u32_e32 v6, vcc, v6, v8
	v_mul_hi_u32 v5, v3, v4
	v_addc_co_u32_e32 v6, vcc, v9, v7, vcc
	v_addc_co_u32_e32 v5, vcc, 0, v5, vcc
	v_mul_lo_u32 v4, v3, v4
	v_add_co_u32_e32 v4, vcc, v6, v4
	v_addc_co_u32_e32 v5, vcc, 0, v5, vcc
	v_add_co_u32_e32 v6, vcc, v2, v4
	v_addc_co_u32_e32 v7, vcc, v3, v5, vcc
	v_mov_b32_e32 v2, v1
	v_mov_b32_e32 v3, v1
	v_add_co_u32_e32 v4, vcc, v0, v2
	v_addc_co_u32_e32 v5, vcc, v1, v3, vcc
	v_xor_b32_e32 v9, v4, v2
	v_xor_b32_e32 v8, v5, v3
	v_mad_u64_u32 v[4:5], s[0:1], v9, v7, 0
	v_mul_hi_u32 v10, v9, v6
	v_add_co_u32_e32 v10, vcc, v10, v4
	v_addc_co_u32_e32 v11, vcc, 0, v5, vcc
	v_mad_u64_u32 v[4:5], s[0:1], v8, v7, 0
	v_mad_u64_u32 v[6:7], s[0:1], v8, v6, 0
	v_add_co_u32_e32 v6, vcc, v10, v6
	v_addc_co_u32_e32 v6, vcc, v11, v7, vcc
	v_addc_co_u32_e32 v5, vcc, 0, v5, vcc
	v_add_co_u32_e32 v6, vcc, v6, v4
	v_addc_co_u32_e32 v7, vcc, 0, v5, vcc
	v_mul_lo_u32 v10, s11, v6
	v_mul_lo_u32 v11, s10, v7
	v_mad_u64_u32 v[4:5], s[0:1], s10, v6, 0
	v_add3_u32 v5, v5, v11, v10
	v_sub_u32_e32 v10, v8, v5
	v_mov_b32_e32 v11, s11
	v_sub_co_u32_e32 v4, vcc, v9, v4
	v_subb_co_u32_e64 v9, s[0:1], v10, v11, vcc
	v_subrev_co_u32_e64 v10, s[0:1], s10, v4
	v_subbrev_co_u32_e64 v9, s[0:1], 0, v9, s[0:1]
	v_cmp_le_u32_e64 s[0:1], s11, v9
	v_cndmask_b32_e64 v11, 0, -1, s[0:1]
	v_cmp_le_u32_e64 s[0:1], s10, v10
	v_cndmask_b32_e64 v10, 0, -1, s[0:1]
	v_cmp_eq_u32_e64 s[0:1], s11, v9
	v_cndmask_b32_e64 v9, v11, v10, s[0:1]
	v_add_co_u32_e64 v10, s[0:1], 2, v6
	v_subb_co_u32_e32 v5, vcc, v8, v5, vcc
	v_addc_co_u32_e64 v11, s[0:1], 0, v7, s[0:1]
	v_cmp_le_u32_e32 vcc, s11, v5
	v_add_co_u32_e64 v12, s[0:1], 1, v6
	v_cndmask_b32_e64 v8, 0, -1, vcc
	v_cmp_le_u32_e32 vcc, s10, v4
	v_addc_co_u32_e64 v13, s[0:1], 0, v7, s[0:1]
	v_cndmask_b32_e64 v4, 0, -1, vcc
	v_cmp_eq_u32_e32 vcc, s11, v5
	v_cmp_ne_u32_e64 s[0:1], 0, v9
	v_cndmask_b32_e32 v4, v8, v4, vcc
	v_cmp_ne_u32_e32 vcc, 0, v4
	v_cndmask_b32_e64 v5, v12, v10, s[0:1]
	v_cndmask_b32_e64 v9, v13, v11, s[0:1]
	v_cndmask_b32_e32 v5, v6, v5, vcc
	v_xor_b32_e32 v2, s8, v2
	v_cndmask_b32_e32 v4, v7, v9, vcc
	v_xor_b32_e32 v3, s8, v3
	v_xor_b32_e32 v5, v5, v2
	;; [unrolled: 1-line block ×3, first 2 shown]
	v_sub_co_u32_e32 v2, vcc, v5, v2
	v_subb_co_u32_e32 v3, vcc, v4, v3, vcc
.LBB80_2:
	s_or_saveexec_b64 s[0:1], s[6:7]
	s_load_dwordx16 s[8:23], s[4:5], 0x0
	s_xor_b64 exec, exec, s[0:1]
	s_cbranch_execz .LBB80_4
; %bb.3:
	v_cvt_f32_u32_e32 v2, s2
	s_sub_i32 s6, 0, s2
	v_rcp_iflag_f32_e32 v2, v2
	v_mul_f32_e32 v2, 0x4f7ffffe, v2
	v_cvt_u32_f32_e32 v2, v2
	v_mul_lo_u32 v3, s6, v2
	v_mul_hi_u32 v3, v2, v3
	v_add_u32_e32 v2, v2, v3
	v_mul_hi_u32 v2, v0, v2
	v_mul_lo_u32 v3, v2, s2
	v_sub_u32_e32 v3, v0, v3
	v_add_u32_e32 v4, 1, v2
	v_subrev_u32_e32 v5, s2, v3
	v_cmp_le_u32_e32 vcc, s2, v3
	v_cndmask_b32_e32 v3, v3, v5, vcc
	v_cndmask_b32_e32 v2, v2, v4, vcc
	v_add_u32_e32 v4, 1, v2
	v_cmp_le_u32_e32 vcc, s2, v3
	v_cndmask_b32_e32 v2, v2, v4, vcc
	v_mov_b32_e32 v3, 0
.LBB80_4:
	s_or_b64 exec, exec, s[0:1]
	v_mul_lo_u32 v3, v3, s2
	v_mul_lo_u32 v6, v2, s3
	v_mad_u64_u32 v[4:5], s[0:1], v2, s2, 0
	v_add3_u32 v3, v5, v6, v3
	v_sub_co_u32_e32 v8, vcc, v0, v4
	v_subb_co_u32_e32 v9, vcc, v1, v3, vcc
	s_waitcnt lgkmcnt(0)
	v_cmp_gt_i64_e32 vcc, s[16:17], v[8:9]
	s_and_saveexec_b64 s[0:1], vcc
	s_cbranch_execz .LBB80_19
; %bb.5:
	s_load_dwordx2 s[0:1], s[20:21], 0x0
	v_ashrrev_i32_e32 v3, 31, v2
	s_waitcnt lgkmcnt(0)
	v_cmp_gt_i64_e32 vcc, s[0:1], v[2:3]
	s_and_b64 exec, exec, vcc
	s_cbranch_execz .LBB80_19
; %bb.6:
	v_lshlrev_b64 v[0:1], 2, v[2:3]
	v_mov_b32_e32 v5, s19
	v_add_co_u32_e32 v4, vcc, s18, v0
	v_addc_co_u32_e32 v5, vcc, v5, v1, vcc
	global_load_dword v4, v[4:5], off
	s_add_u32 s0, s0, -1
	s_addc_u32 s1, s1, -1
	v_cmp_ne_u64_e32 vcc, s[0:1], v[2:3]
                                        ; implicit-def: $vgpr14
	s_and_saveexec_b64 s[0:1], vcc
	s_xor_b64 s[0:1], exec, s[0:1]
	s_cbranch_execz .LBB80_8
; %bb.7:
	v_mov_b32_e32 v3, v2
	v_add_co_u32_e64 v2, vcc, 0, 0
	v_addc_co_u32_e32 v3, vcc, 1, v3, vcc
	v_ashrrev_i64 v[2:3], 30, v[2:3]
	v_mov_b32_e32 v5, s19
	v_add_co_u32_e32 v2, vcc, s18, v2
	v_addc_co_u32_e32 v3, vcc, v5, v3, vcc
	global_load_dword v14, v[2:3], off
.LBB80_8:
	s_or_saveexec_b64 s[0:1], s[0:1]
	s_load_dwordx8 s[24:31], s[4:5], 0x40
	s_xor_b64 exec, exec, s[0:1]
	s_cbranch_execz .LBB80_10
; %bb.9:
	s_waitcnt vmcnt(0)
	v_mov_b32_e32 v14, s14
.LBB80_10:
	s_or_b64 exec, exec, s[0:1]
	s_waitcnt vmcnt(0)
	v_cmp_lt_i32_e32 vcc, v4, v14
	v_pk_mov_b32 v[6:7], 0, 0
	v_lshlrev_b64 v[2:3], 3, v[8:9]
	s_and_saveexec_b64 s[2:3], vcc
	s_cbranch_execz .LBB80_17
; %bb.11:
	v_mov_b32_e32 v5, s11
	v_add_co_u32_e32 v15, vcc, s10, v2
	v_addc_co_u32_e32 v16, vcc, v5, v3, vcc
	v_ashrrev_i32_e32 v5, 31, v4
	v_lshlrev_b64 v[6:7], 2, v[4:5]
	v_mov_b32_e32 v5, s9
	v_add_co_u32_e32 v8, vcc, s8, v6
	s_cmp_lg_u64 s[12:13], 0
	v_addc_co_u32_e32 v9, vcc, v5, v7, vcc
	v_mov_b32_e32 v5, s13
	v_add_co_u32_e32 v10, vcc, s12, v6
	s_cselect_b64 s[0:1], -1, 0
	v_addc_co_u32_e32 v11, vcc, v5, v7, vcc
	v_cndmask_b32_e64 v5, 0, 1, s[0:1]
	s_mov_b64 s[4:5], 0
	v_pk_mov_b32 v[6:7], 0, 0
	v_cmp_ne_u32_e64 s[0:1], 1, v5
	s_branch .LBB80_14
.LBB80_12:                              ;   in Loop: Header=BB80_14 Depth=1
	global_load_dword v12, v[10:11], off
	s_waitcnt vmcnt(0)
	v_cvt_f64_i32_e32 v[12:13], v12
	v_div_scale_f64 v[18:19], s[6:7], v[12:13], v[12:13], 1.0
	v_rcp_f64_e32 v[20:21], v[18:19]
	v_div_scale_f64 v[22:23], vcc, 1.0, v[12:13], 1.0
	v_fma_f64 v[24:25], -v[18:19], v[20:21], 1.0
	v_fmac_f64_e32 v[20:21], v[20:21], v[24:25]
	v_fma_f64 v[24:25], -v[18:19], v[20:21], 1.0
	v_fmac_f64_e32 v[20:21], v[20:21], v[24:25]
	v_mul_f64 v[24:25], v[22:23], v[20:21]
	v_fma_f64 v[18:19], -v[18:19], v[24:25], v[22:23]
	v_div_fmas_f64 v[18:19], v[18:19], v[20:21], v[24:25]
	v_div_fixup_f64 v[12:13], v[18:19], v[12:13], 1.0
.LBB80_13:                              ;   in Loop: Header=BB80_14 Depth=1
	s_waitcnt vmcnt(0)
	v_ashrrev_i32_e32 v17, 31, v5
	v_mul_lo_u32 v20, v5, s17
	v_mul_lo_u32 v17, v17, s16
	v_mad_u64_u32 v[18:19], s[6:7], v5, s16, 0
	v_add3_u32 v19, v19, v20, v17
	v_lshlrev_b64 v[18:19], 3, v[18:19]
	v_add_co_u32_e32 v18, vcc, v15, v18
	v_addc_co_u32_e32 v19, vcc, v16, v19, vcc
	global_load_dwordx2 v[18:19], v[18:19], off
	v_add_co_u32_e32 v8, vcc, 4, v8
	v_add_u32_e32 v4, 1, v4
	v_addc_co_u32_e32 v9, vcc, 0, v9, vcc
	v_cmp_ge_i32_e32 vcc, v4, v14
	s_or_b64 s[4:5], vcc, s[4:5]
	v_add_co_u32_e32 v10, vcc, 4, v10
	v_addc_co_u32_e32 v11, vcc, 0, v11, vcc
	s_waitcnt vmcnt(0)
	v_fmac_f64_e32 v[6:7], v[12:13], v[18:19]
	s_andn2_b64 exec, exec, s[4:5]
	s_cbranch_execz .LBB80_16
.LBB80_14:                              ; =>This Inner Loop Header: Depth=1
	global_load_dword v5, v[8:9], off
	s_and_b64 vcc, exec, s[0:1]
	s_cbranch_vccz .LBB80_12
; %bb.15:                               ;   in Loop: Header=BB80_14 Depth=1
	v_mov_b32_e32 v12, 0
	v_mov_b32_e32 v13, 0x3ff00000
	s_branch .LBB80_13
.LBB80_16:
	s_or_b64 exec, exec, s[4:5]
.LBB80_17:
	s_or_b64 exec, exec, s[2:3]
	s_waitcnt lgkmcnt(0)
	v_mov_b32_e32 v4, s25
	v_add_co_u32_e32 v0, vcc, s24, v0
	v_addc_co_u32_e32 v1, vcc, v4, v1, vcc
	global_load_dword v0, v[0:1], off
	v_mov_b32_e32 v4, s27
	s_waitcnt vmcnt(0)
	v_ashrrev_i32_e32 v1, 31, v0
	v_lshlrev_b64 v[0:1], 2, v[0:1]
	v_add_co_u32_e32 v0, vcc, s26, v0
	v_addc_co_u32_e32 v1, vcc, v4, v1, vcc
	global_load_dword v0, v[0:1], off
	v_mov_b32_e32 v4, s23
	s_waitcnt vmcnt(0)
	v_ashrrev_i32_e32 v1, 31, v0
	v_lshlrev_b64 v[0:1], 2, v[0:1]
	v_add_co_u32_e32 v0, vcc, s22, v0
	v_addc_co_u32_e32 v1, vcc, v4, v1, vcc
	global_load_dword v0, v[0:1], off
	s_waitcnt vmcnt(0)
	v_ashrrev_i32_e32 v1, 31, v0
	v_cmp_ne_u64_e32 vcc, s[30:31], v[0:1]
	s_and_b64 exec, exec, vcc
	s_cbranch_execz .LBB80_19
; %bb.18:
	v_mul_lo_u32 v4, v1, s16
	v_mul_lo_u32 v5, v0, s17
	v_mad_u64_u32 v[0:1], s[0:1], v0, s16, 0
	v_add3_u32 v1, v1, v5, v4
	v_lshlrev_b64 v[0:1], 3, v[0:1]
	v_mov_b32_e32 v4, s29
	v_add_co_u32_e32 v0, vcc, s28, v0
	v_addc_co_u32_e32 v1, vcc, v4, v1, vcc
	v_add_co_u32_e32 v0, vcc, v0, v2
	v_addc_co_u32_e32 v1, vcc, v1, v3, vcc
	global_atomic_add_f64 v[0:1], v[6:7], off
.LBB80_19:
	s_endpgm
	.section	.rodata,"a",@progbits
	.p2align	6, 0x0
	.amdhsa_kernel _ZN2at6native12_GLOBAL__N_137compute_grad_weight_atomic_accumulateIddiEEvPKT1_PKT_S5_llS5_PKlS5_S5_S5_PT0_ll
		.amdhsa_group_segment_fixed_size 0
		.amdhsa_private_segment_fixed_size 0
		.amdhsa_kernarg_size 360
		.amdhsa_user_sgpr_count 6
		.amdhsa_user_sgpr_private_segment_buffer 1
		.amdhsa_user_sgpr_dispatch_ptr 0
		.amdhsa_user_sgpr_queue_ptr 0
		.amdhsa_user_sgpr_kernarg_segment_ptr 1
		.amdhsa_user_sgpr_dispatch_id 0
		.amdhsa_user_sgpr_flat_scratch_init 0
		.amdhsa_user_sgpr_kernarg_preload_length 0
		.amdhsa_user_sgpr_kernarg_preload_offset 0
		.amdhsa_user_sgpr_private_segment_size 0
		.amdhsa_uses_dynamic_stack 0
		.amdhsa_system_sgpr_private_segment_wavefront_offset 0
		.amdhsa_system_sgpr_workgroup_id_x 1
		.amdhsa_system_sgpr_workgroup_id_y 0
		.amdhsa_system_sgpr_workgroup_id_z 0
		.amdhsa_system_sgpr_workgroup_info 0
		.amdhsa_system_vgpr_workitem_id 0
		.amdhsa_next_free_vgpr 26
		.amdhsa_next_free_sgpr 32
		.amdhsa_accum_offset 28
		.amdhsa_reserve_vcc 1
		.amdhsa_reserve_flat_scratch 0
		.amdhsa_float_round_mode_32 0
		.amdhsa_float_round_mode_16_64 0
		.amdhsa_float_denorm_mode_32 3
		.amdhsa_float_denorm_mode_16_64 3
		.amdhsa_dx10_clamp 1
		.amdhsa_ieee_mode 1
		.amdhsa_fp16_overflow 0
		.amdhsa_tg_split 0
		.amdhsa_exception_fp_ieee_invalid_op 0
		.amdhsa_exception_fp_denorm_src 0
		.amdhsa_exception_fp_ieee_div_zero 0
		.amdhsa_exception_fp_ieee_overflow 0
		.amdhsa_exception_fp_ieee_underflow 0
		.amdhsa_exception_fp_ieee_inexact 0
		.amdhsa_exception_int_div_zero 0
	.end_amdhsa_kernel
	.section	.text._ZN2at6native12_GLOBAL__N_137compute_grad_weight_atomic_accumulateIddiEEvPKT1_PKT_S5_llS5_PKlS5_S5_S5_PT0_ll,"axG",@progbits,_ZN2at6native12_GLOBAL__N_137compute_grad_weight_atomic_accumulateIddiEEvPKT1_PKT_S5_llS5_PKlS5_S5_S5_PT0_ll,comdat
.Lfunc_end80:
	.size	_ZN2at6native12_GLOBAL__N_137compute_grad_weight_atomic_accumulateIddiEEvPKT1_PKT_S5_llS5_PKlS5_S5_S5_PT0_ll, .Lfunc_end80-_ZN2at6native12_GLOBAL__N_137compute_grad_weight_atomic_accumulateIddiEEvPKT1_PKT_S5_llS5_PKlS5_S5_S5_PT0_ll
                                        ; -- End function
	.section	.AMDGPU.csdata,"",@progbits
; Kernel info:
; codeLenInByte = 1632
; NumSgprs: 36
; NumVgprs: 26
; NumAgprs: 0
; TotalNumVgprs: 26
; ScratchSize: 0
; MemoryBound: 0
; FloatMode: 240
; IeeeMode: 1
; LDSByteSize: 0 bytes/workgroup (compile time only)
; SGPRBlocks: 4
; VGPRBlocks: 3
; NumSGPRsForWavesPerEU: 36
; NumVGPRsForWavesPerEU: 26
; AccumOffset: 28
; Occupancy: 8
; WaveLimiterHint : 1
; COMPUTE_PGM_RSRC2:SCRATCH_EN: 0
; COMPUTE_PGM_RSRC2:USER_SGPR: 6
; COMPUTE_PGM_RSRC2:TRAP_HANDLER: 0
; COMPUTE_PGM_RSRC2:TGID_X_EN: 1
; COMPUTE_PGM_RSRC2:TGID_Y_EN: 0
; COMPUTE_PGM_RSRC2:TGID_Z_EN: 0
; COMPUTE_PGM_RSRC2:TIDIG_COMP_CNT: 0
; COMPUTE_PGM_RSRC3_GFX90A:ACCUM_OFFSET: 6
; COMPUTE_PGM_RSRC3_GFX90A:TG_SPLIT: 0
	.section	.text._ZN2at6native12_GLOBAL__N_124compute_grad_weight_bagsIdiEEvPKT0_PKT_S5_S5_lliS5_S8_lS5_PKlPNS_14AccumulateTypeIS6_Lb1EE4typeEl,"axG",@progbits,_ZN2at6native12_GLOBAL__N_124compute_grad_weight_bagsIdiEEvPKT0_PKT_S5_S5_lliS5_S8_lS5_PKlPNS_14AccumulateTypeIS6_Lb1EE4typeEl,comdat
	.globl	_ZN2at6native12_GLOBAL__N_124compute_grad_weight_bagsIdiEEvPKT0_PKT_S5_S5_lliS5_S8_lS5_PKlPNS_14AccumulateTypeIS6_Lb1EE4typeEl ; -- Begin function _ZN2at6native12_GLOBAL__N_124compute_grad_weight_bagsIdiEEvPKT0_PKT_S5_S5_lliS5_S8_lS5_PKlPNS_14AccumulateTypeIS6_Lb1EE4typeEl
	.p2align	8
	.type	_ZN2at6native12_GLOBAL__N_124compute_grad_weight_bagsIdiEEvPKT0_PKT_S5_S5_lliS5_S8_lS5_PKlPNS_14AccumulateTypeIS6_Lb1EE4typeEl,@function
_ZN2at6native12_GLOBAL__N_124compute_grad_weight_bagsIdiEEvPKT0_PKT_S5_S5_lliS5_S8_lS5_PKlPNS_14AccumulateTypeIS6_Lb1EE4typeEl: ; @_ZN2at6native12_GLOBAL__N_124compute_grad_weight_bagsIdiEEvPKT0_PKT_S5_S5_lliS5_S8_lS5_PKlPNS_14AccumulateTypeIS6_Lb1EE4typeEl
; %bb.0:
	s_load_dword s0, s[4:5], 0x7c
	s_load_dwordx4 s[24:27], s[4:5], 0x58
	s_load_dwordx2 s[2:3], s[4:5], 0x68
	v_mov_b32_e32 v1, 0
	v_mov_b32_e32 v2, s6
	s_waitcnt lgkmcnt(0)
	s_and_b32 s0, s0, 0xffff
	v_mad_u64_u32 v[2:3], s[0:1], s0, v2, v[0:1]
	v_or_b32_e32 v5, s3, v3
	v_mov_b32_e32 v4, v1
	v_cmp_ne_u64_e32 vcc, 0, v[4:5]
                                        ; implicit-def: $vgpr0_vgpr1
	s_and_saveexec_b64 s[0:1], vcc
	s_xor_b64 s[6:7], exec, s[0:1]
	s_cbranch_execz .LBB81_2
; %bb.1:
	s_ashr_i32 s8, s3, 31
	s_add_u32 s0, s2, s8
	s_mov_b32 s9, s8
	s_addc_u32 s1, s3, s8
	s_xor_b64 s[10:11], s[0:1], s[8:9]
	v_cvt_f32_u32_e32 v0, s10
	v_cvt_f32_u32_e32 v1, s11
	s_sub_u32 s0, 0, s10
	s_subb_u32 s1, 0, s11
	v_madmk_f32 v0, v1, 0x4f800000, v0
	v_rcp_f32_e32 v0, v0
	v_mul_f32_e32 v0, 0x5f7ffffc, v0
	v_mul_f32_e32 v1, 0x2f800000, v0
	v_trunc_f32_e32 v1, v1
	v_madmk_f32 v0, v1, 0xcf800000, v0
	v_cvt_u32_f32_e32 v1, v1
	v_cvt_u32_f32_e32 v0, v0
	v_mul_lo_u32 v4, s0, v1
	v_mul_hi_u32 v6, s0, v0
	v_mul_lo_u32 v5, s1, v0
	v_add_u32_e32 v4, v6, v4
	v_mul_lo_u32 v7, s0, v0
	v_add_u32_e32 v4, v4, v5
	v_mul_lo_u32 v6, v0, v4
	v_mul_hi_u32 v8, v0, v7
	v_mul_hi_u32 v5, v0, v4
	v_add_co_u32_e32 v6, vcc, v8, v6
	v_addc_co_u32_e32 v5, vcc, 0, v5, vcc
	v_mul_hi_u32 v9, v1, v7
	v_mul_lo_u32 v7, v1, v7
	v_add_co_u32_e32 v6, vcc, v6, v7
	v_mul_hi_u32 v8, v1, v4
	v_addc_co_u32_e32 v5, vcc, v5, v9, vcc
	v_addc_co_u32_e32 v6, vcc, 0, v8, vcc
	v_mul_lo_u32 v4, v1, v4
	v_add_co_u32_e32 v4, vcc, v5, v4
	v_addc_co_u32_e32 v5, vcc, 0, v6, vcc
	v_add_co_u32_e32 v0, vcc, v0, v4
	v_addc_co_u32_e32 v1, vcc, v1, v5, vcc
	v_mul_lo_u32 v4, s0, v1
	v_mul_hi_u32 v5, s0, v0
	v_add_u32_e32 v4, v5, v4
	v_mul_lo_u32 v5, s1, v0
	v_add_u32_e32 v4, v4, v5
	v_mul_lo_u32 v6, s0, v0
	v_mul_hi_u32 v7, v1, v6
	v_mul_lo_u32 v8, v1, v6
	v_mul_lo_u32 v10, v0, v4
	v_mul_hi_u32 v6, v0, v6
	v_mul_hi_u32 v9, v0, v4
	v_add_co_u32_e32 v6, vcc, v6, v10
	v_addc_co_u32_e32 v9, vcc, 0, v9, vcc
	v_add_co_u32_e32 v6, vcc, v6, v8
	v_mul_hi_u32 v5, v1, v4
	v_addc_co_u32_e32 v6, vcc, v9, v7, vcc
	v_addc_co_u32_e32 v5, vcc, 0, v5, vcc
	v_mul_lo_u32 v4, v1, v4
	v_add_co_u32_e32 v4, vcc, v6, v4
	v_addc_co_u32_e32 v5, vcc, 0, v5, vcc
	v_add_co_u32_e32 v4, vcc, v0, v4
	v_addc_co_u32_e32 v5, vcc, v1, v5, vcc
	v_ashrrev_i32_e32 v6, 31, v3
	v_add_co_u32_e32 v0, vcc, v2, v6
	v_addc_co_u32_e32 v1, vcc, v3, v6, vcc
	v_xor_b32_e32 v8, v0, v6
	v_xor_b32_e32 v7, v1, v6
	v_mad_u64_u32 v[0:1], s[0:1], v8, v5, 0
	v_mul_hi_u32 v9, v8, v4
	v_add_co_u32_e32 v9, vcc, v9, v0
	v_addc_co_u32_e32 v10, vcc, 0, v1, vcc
	v_mad_u64_u32 v[0:1], s[0:1], v7, v5, 0
	v_mad_u64_u32 v[4:5], s[0:1], v7, v4, 0
	v_add_co_u32_e32 v4, vcc, v9, v4
	v_addc_co_u32_e32 v4, vcc, v10, v5, vcc
	v_addc_co_u32_e32 v1, vcc, 0, v1, vcc
	v_add_co_u32_e32 v4, vcc, v4, v0
	v_addc_co_u32_e32 v5, vcc, 0, v1, vcc
	v_mul_lo_u32 v9, s11, v4
	v_mul_lo_u32 v10, s10, v5
	v_mad_u64_u32 v[0:1], s[0:1], s10, v4, 0
	v_add3_u32 v1, v1, v10, v9
	v_sub_u32_e32 v9, v7, v1
	v_mov_b32_e32 v10, s11
	v_sub_co_u32_e32 v0, vcc, v8, v0
	v_subb_co_u32_e64 v8, s[0:1], v9, v10, vcc
	v_subrev_co_u32_e64 v9, s[0:1], s10, v0
	v_subbrev_co_u32_e64 v8, s[0:1], 0, v8, s[0:1]
	v_cmp_le_u32_e64 s[0:1], s11, v8
	v_cndmask_b32_e64 v10, 0, -1, s[0:1]
	v_cmp_le_u32_e64 s[0:1], s10, v9
	v_cndmask_b32_e64 v9, 0, -1, s[0:1]
	v_cmp_eq_u32_e64 s[0:1], s11, v8
	v_cndmask_b32_e64 v8, v10, v9, s[0:1]
	v_add_co_u32_e64 v9, s[0:1], 2, v4
	v_subb_co_u32_e32 v1, vcc, v7, v1, vcc
	v_addc_co_u32_e64 v10, s[0:1], 0, v5, s[0:1]
	v_cmp_le_u32_e32 vcc, s11, v1
	v_add_co_u32_e64 v11, s[0:1], 1, v4
	v_cndmask_b32_e64 v7, 0, -1, vcc
	v_cmp_le_u32_e32 vcc, s10, v0
	v_addc_co_u32_e64 v12, s[0:1], 0, v5, s[0:1]
	v_cndmask_b32_e64 v0, 0, -1, vcc
	v_cmp_eq_u32_e32 vcc, s11, v1
	v_cmp_ne_u32_e64 s[0:1], 0, v8
	v_cndmask_b32_e32 v0, v7, v0, vcc
	v_cndmask_b32_e64 v8, v12, v10, s[0:1]
	v_cmp_ne_u32_e32 vcc, 0, v0
	v_cndmask_b32_e64 v1, v11, v9, s[0:1]
	v_cndmask_b32_e32 v0, v5, v8, vcc
	v_cndmask_b32_e32 v1, v4, v1, vcc
	v_xor_b32_e32 v4, s8, v6
	v_xor_b32_e32 v5, v0, v4
	;; [unrolled: 1-line block ×3, first 2 shown]
	v_sub_co_u32_e32 v0, vcc, v0, v4
	v_subb_co_u32_e32 v1, vcc, v5, v4, vcc
.LBB81_2:
	s_or_saveexec_b64 s[0:1], s[6:7]
	s_load_dwordx2 s[6:7], s[24:25], 0x0
	s_xor_b64 exec, exec, s[0:1]
	s_cbranch_execz .LBB81_4
; %bb.3:
	v_cvt_f32_u32_e32 v0, s2
	s_sub_i32 s8, 0, s2
	v_rcp_iflag_f32_e32 v0, v0
	v_mul_f32_e32 v0, 0x4f7ffffe, v0
	v_cvt_u32_f32_e32 v0, v0
	v_mul_lo_u32 v1, s8, v0
	v_mul_hi_u32 v1, v0, v1
	v_add_u32_e32 v0, v0, v1
	v_mul_hi_u32 v0, v2, v0
	v_mul_lo_u32 v1, v0, s2
	v_sub_u32_e32 v1, v2, v1
	v_add_u32_e32 v4, 1, v0
	v_subrev_u32_e32 v5, s2, v1
	v_cmp_le_u32_e32 vcc, s2, v1
	v_cndmask_b32_e32 v1, v1, v5, vcc
	v_cndmask_b32_e32 v0, v0, v4, vcc
	v_add_u32_e32 v4, 1, v0
	v_cmp_le_u32_e32 vcc, s2, v1
	v_cndmask_b32_e32 v0, v0, v4, vcc
	v_mov_b32_e32 v1, 0
.LBB81_4:
	s_or_b64 exec, exec, s[0:1]
	s_load_dwordx4 s[28:31], s[4:5], 0x20
	v_mul_lo_u32 v6, v1, s2
	v_mul_lo_u32 v7, v0, s3
	v_mad_u64_u32 v[4:5], s[0:1], v0, s2, 0
	v_add3_u32 v5, v5, v7, v6
	v_sub_co_u32_e32 v4, vcc, v2, v4
	v_subb_co_u32_e32 v5, vcc, v3, v5, vcc
	s_waitcnt lgkmcnt(0)
	v_cmp_gt_i64_e32 vcc, s[30:31], v[4:5]
	v_cmp_gt_i64_e64 s[0:1], s[6:7], v[0:1]
	s_and_b64 s[0:1], vcc, s[0:1]
	s_and_saveexec_b64 s[2:3], s[0:1]
	s_cbranch_execz .LBB81_20
; %bb.5:
	s_load_dwordx8 s[8:15], s[4:5], 0x38
	v_lshlrev_b64 v[2:3], 2, v[0:1]
	s_load_dwordx8 s[16:23], s[4:5], 0x0
	s_add_u32 s0, s6, -1
	s_addc_u32 s1, s7, -1
	s_waitcnt lgkmcnt(0)
	v_mov_b32_e32 v7, s15
	v_add_co_u32_e32 v6, vcc, s14, v2
	v_addc_co_u32_e32 v7, vcc, v7, v3, vcc
	global_load_dword v2, v[6:7], off
	v_cmp_ne_u64_e32 vcc, s[0:1], v[0:1]
                                        ; implicit-def: $vgpr18
	s_and_saveexec_b64 s[0:1], vcc
	s_xor_b64 s[0:1], exec, s[0:1]
	s_cbranch_execz .LBB81_7
; %bb.6:
	global_load_dword v18, v[6:7], off offset:4
.LBB81_7:
	s_andn2_saveexec_b64 s[0:1], s[0:1]
	s_cbranch_execz .LBB81_9
; %bb.8:
	s_waitcnt vmcnt(0)
	v_mov_b32_e32 v18, s28
.LBB81_9:
	s_or_b64 exec, exec, s[0:1]
	s_waitcnt vmcnt(0)
	v_cmp_lt_i32_e32 vcc, v2, v18
	v_pk_mov_b32 v[6:7], 0, 0
	v_lshlrev_b64 v[4:5], 3, v[4:5]
	s_and_saveexec_b64 s[6:7], vcc
	s_cbranch_execz .LBB81_19
; %bb.10:
	s_load_dword s14, s[4:5], 0x30
	v_mov_b32_e32 v3, s19
	v_add_co_u32_e32 v19, vcc, s18, v4
	v_addc_co_u32_e32 v20, vcc, v3, v5, vcc
	v_ashrrev_i32_e32 v3, 31, v2
	s_cmp_lg_u64 s[22:23], 0
	v_lshlrev_b64 v[6:7], 2, v[2:3]
	s_cselect_b64 s[0:1], -1, 0
	s_cmp_lg_u64 s[10:11], 0
	v_mov_b32_e32 v3, s17
	v_add_co_u32_e32 v8, vcc, s16, v6
	s_cselect_b64 s[2:3], -1, 0
	v_addc_co_u32_e32 v9, vcc, v3, v7, vcc
	v_cndmask_b32_e64 v12, 0, 1, s[0:1]
	s_waitcnt lgkmcnt(0)
	s_cmp_lg_u32 s14, 0
	v_mov_b32_e32 v3, s23
	v_add_co_u32_e32 v10, vcc, s22, v6
	v_cmp_ne_u32_e64 s[0:1], 1, v12
	v_cndmask_b32_e64 v12, 0, 1, s[2:3]
	s_mov_b64 s[4:5], 0
	s_cselect_b64 s[14:15], -1, 0
	v_addc_co_u32_e32 v11, vcc, v3, v7, vcc
	v_pk_mov_b32 v[6:7], 0, 0
	v_mov_b32_e32 v3, s21
	v_cmp_ne_u32_e64 s[2:3], 1, v12
	s_branch .LBB81_12
.LBB81_11:                              ;   in Loop: Header=BB81_12 Depth=1
	v_add_co_u32_e32 v8, vcc, 4, v8
	v_add_u32_e32 v2, 1, v2
	v_addc_co_u32_e32 v9, vcc, 0, v9, vcc
	v_cmp_ge_i32_e32 vcc, v2, v18
	s_or_b64 s[4:5], vcc, s[4:5]
	v_add_co_u32_e32 v10, vcc, 4, v10
	s_waitcnt vmcnt(0)
	v_fmac_f64_e32 v[6:7], v[12:13], v[16:17]
	v_addc_co_u32_e32 v11, vcc, 0, v11, vcc
	s_andn2_b64 exec, exec, s[4:5]
	s_cbranch_execz .LBB81_18
.LBB81_12:                              ; =>This Inner Loop Header: Depth=1
	global_load_dword v16, v[8:9], off
	s_waitcnt vmcnt(0)
	v_ashrrev_i32_e32 v17, 31, v16
	v_lshlrev_b64 v[12:13], 2, v[16:17]
	v_add_co_u32_e32 v12, vcc, s20, v12
	v_addc_co_u32_e32 v13, vcc, v3, v13, vcc
	global_load_dword v14, v[12:13], off
	s_and_b64 vcc, exec, s[0:1]
	s_cbranch_vccnz .LBB81_17
; %bb.13:                               ;   in Loop: Header=BB81_12 Depth=1
	global_load_dword v12, v[10:11], off
	s_waitcnt vmcnt(0)
	v_cvt_f64_i32_e32 v[12:13], v12
	v_div_scale_f64 v[22:23], s[16:17], v[12:13], v[12:13], 1.0
	v_rcp_f64_e32 v[24:25], v[22:23]
	v_div_scale_f64 v[26:27], vcc, 1.0, v[12:13], 1.0
	v_fma_f64 v[28:29], -v[22:23], v[24:25], 1.0
	v_fmac_f64_e32 v[24:25], v[24:25], v[28:29]
	v_fma_f64 v[28:29], -v[22:23], v[24:25], 1.0
	v_fmac_f64_e32 v[24:25], v[24:25], v[28:29]
	v_mul_f64 v[28:29], v[26:27], v[24:25]
	v_fma_f64 v[22:23], -v[22:23], v[28:29], v[26:27]
	v_div_fmas_f64 v[22:23], v[22:23], v[24:25], v[28:29]
	v_div_fixup_f64 v[12:13], v[22:23], v[12:13], 1.0
	s_and_b64 vcc, exec, s[2:3]
	s_cbranch_vccnz .LBB81_15
.LBB81_14:                              ;   in Loop: Header=BB81_12 Depth=1
	v_mul_lo_u32 v15, v17, s12
	v_mul_lo_u32 v21, v16, s13
	v_mad_u64_u32 v[16:17], s[16:17], v16, s12, 0
	v_add3_u32 v17, v17, v21, v15
	v_lshlrev_b64 v[16:17], 3, v[16:17]
	v_mov_b32_e32 v15, s11
	v_add_co_u32_e32 v16, vcc, s10, v16
	v_addc_co_u32_e32 v17, vcc, v15, v17, vcc
	global_load_dwordx2 v[16:17], v[16:17], off
	s_waitcnt vmcnt(0)
	v_mul_f64 v[12:13], v[12:13], v[16:17]
.LBB81_15:                              ;   in Loop: Header=BB81_12 Depth=1
	s_waitcnt vmcnt(0)
	v_mul_lo_u32 v16, v14, s30
	v_ashrrev_i32_e32 v17, 31, v16
	v_lshlrev_b64 v[16:17], 3, v[16:17]
	v_add_co_u32_e32 v16, vcc, v19, v16
	v_addc_co_u32_e32 v17, vcc, v20, v17, vcc
	global_load_dwordx2 v[16:17], v[16:17], off
	s_andn2_b64 vcc, exec, s[14:15]
	s_cbranch_vccnz .LBB81_11
; %bb.16:                               ;   in Loop: Header=BB81_12 Depth=1
	v_ashrrev_i32_e32 v15, 31, v14
	v_lshlrev_b64 v[14:15], 2, v[14:15]
	v_mov_b32_e32 v21, s9
	v_add_co_u32_e32 v14, vcc, s8, v14
	v_addc_co_u32_e32 v15, vcc, v21, v15, vcc
	global_load_dword v14, v[14:15], off
	s_waitcnt vmcnt(0)
	v_cvt_f64_i32_e32 v[14:15], v14
	v_div_scale_f64 v[22:23], s[16:17], v[14:15], v[14:15], v[16:17]
	v_rcp_f64_e32 v[24:25], v[22:23]
	v_div_scale_f64 v[26:27], vcc, v[16:17], v[14:15], v[16:17]
	v_fma_f64 v[28:29], -v[22:23], v[24:25], 1.0
	v_fmac_f64_e32 v[24:25], v[24:25], v[28:29]
	v_fma_f64 v[28:29], -v[22:23], v[24:25], 1.0
	v_fmac_f64_e32 v[24:25], v[24:25], v[28:29]
	v_mul_f64 v[28:29], v[26:27], v[24:25]
	v_fma_f64 v[22:23], -v[22:23], v[28:29], v[26:27]
	v_div_fmas_f64 v[22:23], v[22:23], v[24:25], v[28:29]
	v_div_fixup_f64 v[16:17], v[22:23], v[14:15], v[16:17]
	s_branch .LBB81_11
.LBB81_17:                              ;   in Loop: Header=BB81_12 Depth=1
	v_mov_b32_e32 v12, 0
	v_mov_b32_e32 v13, 0x3ff00000
	s_and_b64 vcc, exec, s[2:3]
	s_cbranch_vccz .LBB81_14
	s_branch .LBB81_15
.LBB81_18:
	s_or_b64 exec, exec, s[4:5]
.LBB81_19:
	s_or_b64 exec, exec, s[6:7]
	v_mul_lo_u32 v2, v1, s30
	v_mul_lo_u32 v3, v0, s31
	v_mad_u64_u32 v[0:1], s[0:1], v0, s30, 0
	v_add3_u32 v1, v1, v3, v2
	v_lshlrev_b64 v[0:1], 3, v[0:1]
	v_mov_b32_e32 v2, s27
	v_add_co_u32_e32 v0, vcc, s26, v0
	v_addc_co_u32_e32 v1, vcc, v2, v1, vcc
	v_add_co_u32_e32 v0, vcc, v0, v4
	v_addc_co_u32_e32 v1, vcc, v1, v5, vcc
	global_store_dwordx2 v[0:1], v[6:7], off
.LBB81_20:
	s_endpgm
	.section	.rodata,"a",@progbits
	.p2align	6, 0x0
	.amdhsa_kernel _ZN2at6native12_GLOBAL__N_124compute_grad_weight_bagsIdiEEvPKT0_PKT_S5_S5_lliS5_S8_lS5_PKlPNS_14AccumulateTypeIS6_Lb1EE4typeEl
		.amdhsa_group_segment_fixed_size 0
		.amdhsa_private_segment_fixed_size 0
		.amdhsa_kernarg_size 368
		.amdhsa_user_sgpr_count 6
		.amdhsa_user_sgpr_private_segment_buffer 1
		.amdhsa_user_sgpr_dispatch_ptr 0
		.amdhsa_user_sgpr_queue_ptr 0
		.amdhsa_user_sgpr_kernarg_segment_ptr 1
		.amdhsa_user_sgpr_dispatch_id 0
		.amdhsa_user_sgpr_flat_scratch_init 0
		.amdhsa_user_sgpr_kernarg_preload_length 0
		.amdhsa_user_sgpr_kernarg_preload_offset 0
		.amdhsa_user_sgpr_private_segment_size 0
		.amdhsa_uses_dynamic_stack 0
		.amdhsa_system_sgpr_private_segment_wavefront_offset 0
		.amdhsa_system_sgpr_workgroup_id_x 1
		.amdhsa_system_sgpr_workgroup_id_y 0
		.amdhsa_system_sgpr_workgroup_id_z 0
		.amdhsa_system_sgpr_workgroup_info 0
		.amdhsa_system_vgpr_workitem_id 0
		.amdhsa_next_free_vgpr 30
		.amdhsa_next_free_sgpr 32
		.amdhsa_accum_offset 32
		.amdhsa_reserve_vcc 1
		.amdhsa_reserve_flat_scratch 0
		.amdhsa_float_round_mode_32 0
		.amdhsa_float_round_mode_16_64 0
		.amdhsa_float_denorm_mode_32 3
		.amdhsa_float_denorm_mode_16_64 3
		.amdhsa_dx10_clamp 1
		.amdhsa_ieee_mode 1
		.amdhsa_fp16_overflow 0
		.amdhsa_tg_split 0
		.amdhsa_exception_fp_ieee_invalid_op 0
		.amdhsa_exception_fp_denorm_src 0
		.amdhsa_exception_fp_ieee_div_zero 0
		.amdhsa_exception_fp_ieee_overflow 0
		.amdhsa_exception_fp_ieee_underflow 0
		.amdhsa_exception_fp_ieee_inexact 0
		.amdhsa_exception_int_div_zero 0
	.end_amdhsa_kernel
	.section	.text._ZN2at6native12_GLOBAL__N_124compute_grad_weight_bagsIdiEEvPKT0_PKT_S5_S5_lliS5_S8_lS5_PKlPNS_14AccumulateTypeIS6_Lb1EE4typeEl,"axG",@progbits,_ZN2at6native12_GLOBAL__N_124compute_grad_weight_bagsIdiEEvPKT0_PKT_S5_S5_lliS5_S8_lS5_PKlPNS_14AccumulateTypeIS6_Lb1EE4typeEl,comdat
.Lfunc_end81:
	.size	_ZN2at6native12_GLOBAL__N_124compute_grad_weight_bagsIdiEEvPKT0_PKT_S5_S5_lliS5_S8_lS5_PKlPNS_14AccumulateTypeIS6_Lb1EE4typeEl, .Lfunc_end81-_ZN2at6native12_GLOBAL__N_124compute_grad_weight_bagsIdiEEvPKT0_PKT_S5_S5_lliS5_S8_lS5_PKlPNS_14AccumulateTypeIS6_Lb1EE4typeEl
                                        ; -- End function
	.section	.AMDGPU.csdata,"",@progbits
; Kernel info:
; codeLenInByte = 1756
; NumSgprs: 36
; NumVgprs: 30
; NumAgprs: 0
; TotalNumVgprs: 30
; ScratchSize: 0
; MemoryBound: 0
; FloatMode: 240
; IeeeMode: 1
; LDSByteSize: 0 bytes/workgroup (compile time only)
; SGPRBlocks: 4
; VGPRBlocks: 3
; NumSGPRsForWavesPerEU: 36
; NumVGPRsForWavesPerEU: 30
; AccumOffset: 32
; Occupancy: 8
; WaveLimiterHint : 1
; COMPUTE_PGM_RSRC2:SCRATCH_EN: 0
; COMPUTE_PGM_RSRC2:USER_SGPR: 6
; COMPUTE_PGM_RSRC2:TRAP_HANDLER: 0
; COMPUTE_PGM_RSRC2:TGID_X_EN: 1
; COMPUTE_PGM_RSRC2:TGID_Y_EN: 0
; COMPUTE_PGM_RSRC2:TGID_Z_EN: 0
; COMPUTE_PGM_RSRC2:TIDIG_COMP_CNT: 0
; COMPUTE_PGM_RSRC3_GFX90A:ACCUM_OFFSET: 7
; COMPUTE_PGM_RSRC3_GFX90A:TG_SPLIT: 0
	.section	.text._ZN2at6native12_GLOBAL__N_119compute_grad_weightIdiEEvPKT0_PKT_S5_llS5_PKlPNS_14AccumulateTypeIS6_Lb1EE4typeEl,"axG",@progbits,_ZN2at6native12_GLOBAL__N_119compute_grad_weightIdiEEvPKT0_PKT_S5_llS5_PKlPNS_14AccumulateTypeIS6_Lb1EE4typeEl,comdat
	.globl	_ZN2at6native12_GLOBAL__N_119compute_grad_weightIdiEEvPKT0_PKT_S5_llS5_PKlPNS_14AccumulateTypeIS6_Lb1EE4typeEl ; -- Begin function _ZN2at6native12_GLOBAL__N_119compute_grad_weightIdiEEvPKT0_PKT_S5_llS5_PKlPNS_14AccumulateTypeIS6_Lb1EE4typeEl
	.p2align	8
	.type	_ZN2at6native12_GLOBAL__N_119compute_grad_weightIdiEEvPKT0_PKT_S5_llS5_PKlPNS_14AccumulateTypeIS6_Lb1EE4typeEl,@function
_ZN2at6native12_GLOBAL__N_119compute_grad_weightIdiEEvPKT0_PKT_S5_llS5_PKlPNS_14AccumulateTypeIS6_Lb1EE4typeEl: ; @_ZN2at6native12_GLOBAL__N_119compute_grad_weightIdiEEvPKT0_PKT_S5_llS5_PKlPNS_14AccumulateTypeIS6_Lb1EE4typeEl
; %bb.0:
	s_load_dword s0, s[4:5], 0x54
	s_load_dwordx2 s[2:3], s[4:5], 0x40
	s_load_dwordx16 s[8:23], s[4:5], 0x0
	v_mov_b32_e32 v1, 0
	v_mov_b32_e32 v2, s6
	s_waitcnt lgkmcnt(0)
	s_and_b32 s0, s0, 0xffff
	v_mad_u64_u32 v[2:3], s[0:1], s0, v2, v[0:1]
	v_or_b32_e32 v5, s3, v3
	v_mov_b32_e32 v4, v1
	v_cmp_ne_u64_e32 vcc, 0, v[4:5]
                                        ; implicit-def: $vgpr0_vgpr1
	s_and_saveexec_b64 s[0:1], vcc
	s_xor_b64 s[4:5], exec, s[0:1]
	s_cbranch_execz .LBB82_2
; %bb.1:
	s_ashr_i32 s6, s3, 31
	s_add_u32 s0, s2, s6
	s_mov_b32 s7, s6
	s_addc_u32 s1, s3, s6
	s_xor_b64 s[24:25], s[0:1], s[6:7]
	v_cvt_f32_u32_e32 v0, s24
	v_cvt_f32_u32_e32 v1, s25
	s_sub_u32 s0, 0, s24
	s_subb_u32 s1, 0, s25
	v_madmk_f32 v0, v1, 0x4f800000, v0
	v_rcp_f32_e32 v0, v0
	v_mul_f32_e32 v0, 0x5f7ffffc, v0
	v_mul_f32_e32 v1, 0x2f800000, v0
	v_trunc_f32_e32 v1, v1
	v_madmk_f32 v0, v1, 0xcf800000, v0
	v_cvt_u32_f32_e32 v1, v1
	v_cvt_u32_f32_e32 v0, v0
	v_mul_lo_u32 v4, s0, v1
	v_mul_hi_u32 v6, s0, v0
	v_mul_lo_u32 v5, s1, v0
	v_add_u32_e32 v4, v6, v4
	v_mul_lo_u32 v7, s0, v0
	v_add_u32_e32 v4, v4, v5
	v_mul_lo_u32 v6, v0, v4
	v_mul_hi_u32 v8, v0, v7
	v_mul_hi_u32 v5, v0, v4
	v_add_co_u32_e32 v6, vcc, v8, v6
	v_addc_co_u32_e32 v5, vcc, 0, v5, vcc
	v_mul_hi_u32 v9, v1, v7
	v_mul_lo_u32 v7, v1, v7
	v_add_co_u32_e32 v6, vcc, v6, v7
	v_mul_hi_u32 v8, v1, v4
	v_addc_co_u32_e32 v5, vcc, v5, v9, vcc
	v_addc_co_u32_e32 v6, vcc, 0, v8, vcc
	v_mul_lo_u32 v4, v1, v4
	v_add_co_u32_e32 v4, vcc, v5, v4
	v_addc_co_u32_e32 v5, vcc, 0, v6, vcc
	v_add_co_u32_e32 v0, vcc, v0, v4
	v_addc_co_u32_e32 v1, vcc, v1, v5, vcc
	v_mul_lo_u32 v4, s0, v1
	v_mul_hi_u32 v5, s0, v0
	v_add_u32_e32 v4, v5, v4
	v_mul_lo_u32 v5, s1, v0
	v_add_u32_e32 v4, v4, v5
	v_mul_lo_u32 v6, s0, v0
	v_mul_hi_u32 v7, v1, v6
	v_mul_lo_u32 v8, v1, v6
	v_mul_lo_u32 v10, v0, v4
	v_mul_hi_u32 v6, v0, v6
	v_mul_hi_u32 v9, v0, v4
	v_add_co_u32_e32 v6, vcc, v6, v10
	v_addc_co_u32_e32 v9, vcc, 0, v9, vcc
	v_add_co_u32_e32 v6, vcc, v6, v8
	v_mul_hi_u32 v5, v1, v4
	v_addc_co_u32_e32 v6, vcc, v9, v7, vcc
	v_addc_co_u32_e32 v5, vcc, 0, v5, vcc
	v_mul_lo_u32 v4, v1, v4
	v_add_co_u32_e32 v4, vcc, v6, v4
	v_addc_co_u32_e32 v5, vcc, 0, v5, vcc
	v_add_co_u32_e32 v4, vcc, v0, v4
	v_addc_co_u32_e32 v5, vcc, v1, v5, vcc
	v_ashrrev_i32_e32 v6, 31, v3
	v_add_co_u32_e32 v0, vcc, v2, v6
	v_addc_co_u32_e32 v1, vcc, v3, v6, vcc
	v_xor_b32_e32 v8, v0, v6
	v_xor_b32_e32 v7, v1, v6
	v_mad_u64_u32 v[0:1], s[0:1], v8, v5, 0
	v_mul_hi_u32 v9, v8, v4
	v_add_co_u32_e32 v9, vcc, v9, v0
	v_addc_co_u32_e32 v10, vcc, 0, v1, vcc
	v_mad_u64_u32 v[0:1], s[0:1], v7, v5, 0
	v_mad_u64_u32 v[4:5], s[0:1], v7, v4, 0
	v_add_co_u32_e32 v4, vcc, v9, v4
	v_addc_co_u32_e32 v4, vcc, v10, v5, vcc
	v_addc_co_u32_e32 v1, vcc, 0, v1, vcc
	v_add_co_u32_e32 v4, vcc, v4, v0
	v_addc_co_u32_e32 v5, vcc, 0, v1, vcc
	v_mul_lo_u32 v9, s25, v4
	v_mul_lo_u32 v10, s24, v5
	v_mad_u64_u32 v[0:1], s[0:1], s24, v4, 0
	v_add3_u32 v1, v1, v10, v9
	v_sub_u32_e32 v9, v7, v1
	v_mov_b32_e32 v10, s25
	v_sub_co_u32_e32 v0, vcc, v8, v0
	v_subb_co_u32_e64 v8, s[0:1], v9, v10, vcc
	v_subrev_co_u32_e64 v9, s[0:1], s24, v0
	v_subbrev_co_u32_e64 v8, s[0:1], 0, v8, s[0:1]
	v_cmp_le_u32_e64 s[0:1], s25, v8
	v_cndmask_b32_e64 v10, 0, -1, s[0:1]
	v_cmp_le_u32_e64 s[0:1], s24, v9
	v_cndmask_b32_e64 v9, 0, -1, s[0:1]
	v_cmp_eq_u32_e64 s[0:1], s25, v8
	v_cndmask_b32_e64 v8, v10, v9, s[0:1]
	v_add_co_u32_e64 v9, s[0:1], 2, v4
	v_subb_co_u32_e32 v1, vcc, v7, v1, vcc
	v_addc_co_u32_e64 v10, s[0:1], 0, v5, s[0:1]
	v_cmp_le_u32_e32 vcc, s25, v1
	v_add_co_u32_e64 v11, s[0:1], 1, v4
	v_cndmask_b32_e64 v7, 0, -1, vcc
	v_cmp_le_u32_e32 vcc, s24, v0
	v_addc_co_u32_e64 v12, s[0:1], 0, v5, s[0:1]
	v_cndmask_b32_e64 v0, 0, -1, vcc
	v_cmp_eq_u32_e32 vcc, s25, v1
	v_cmp_ne_u32_e64 s[0:1], 0, v8
	v_cndmask_b32_e32 v0, v7, v0, vcc
	v_cndmask_b32_e64 v8, v12, v10, s[0:1]
	v_cmp_ne_u32_e32 vcc, 0, v0
	v_cndmask_b32_e64 v1, v11, v9, s[0:1]
	v_cndmask_b32_e32 v0, v5, v8, vcc
	v_cndmask_b32_e32 v1, v4, v1, vcc
	v_xor_b32_e32 v4, s6, v6
	v_xor_b32_e32 v5, v0, v4
	;; [unrolled: 1-line block ×3, first 2 shown]
	v_sub_co_u32_e32 v0, vcc, v0, v4
	v_subb_co_u32_e32 v1, vcc, v5, v4, vcc
.LBB82_2:
	s_or_saveexec_b64 s[0:1], s[4:5]
	s_load_dwordx2 s[4:5], s[20:21], 0x0
	s_xor_b64 exec, exec, s[0:1]
	s_cbranch_execz .LBB82_4
; %bb.3:
	v_cvt_f32_u32_e32 v0, s2
	s_sub_i32 s6, 0, s2
	v_rcp_iflag_f32_e32 v0, v0
	v_mul_f32_e32 v0, 0x4f7ffffe, v0
	v_cvt_u32_f32_e32 v0, v0
	v_mul_lo_u32 v1, s6, v0
	v_mul_hi_u32 v1, v0, v1
	v_add_u32_e32 v0, v0, v1
	v_mul_hi_u32 v0, v2, v0
	v_mul_lo_u32 v1, v0, s2
	v_sub_u32_e32 v1, v2, v1
	v_add_u32_e32 v4, 1, v0
	v_subrev_u32_e32 v5, s2, v1
	v_cmp_le_u32_e32 vcc, s2, v1
	v_cndmask_b32_e32 v1, v1, v5, vcc
	v_cndmask_b32_e32 v0, v0, v4, vcc
	v_add_u32_e32 v4, 1, v0
	v_cmp_le_u32_e32 vcc, s2, v1
	v_cndmask_b32_e32 v0, v0, v4, vcc
	v_mov_b32_e32 v1, 0
.LBB82_4:
	s_or_b64 exec, exec, s[0:1]
	v_mul_lo_u32 v6, v1, s2
	v_mul_lo_u32 v7, v0, s3
	v_mad_u64_u32 v[4:5], s[0:1], v0, s2, 0
	v_add3_u32 v5, v5, v7, v6
	v_sub_co_u32_e32 v4, vcc, v2, v4
	v_subb_co_u32_e32 v5, vcc, v3, v5, vcc
	v_cmp_gt_i64_e32 vcc, s[16:17], v[4:5]
	s_waitcnt lgkmcnt(0)
	v_cmp_gt_i64_e64 s[0:1], s[4:5], v[0:1]
	s_and_b64 s[0:1], vcc, s[0:1]
	s_and_saveexec_b64 s[2:3], s[0:1]
	s_cbranch_execz .LBB82_17
; %bb.5:
	v_lshlrev_b64 v[2:3], 2, v[0:1]
	v_mov_b32_e32 v7, s19
	v_add_co_u32_e32 v6, vcc, s18, v2
	v_addc_co_u32_e32 v7, vcc, v7, v3, vcc
	global_load_dword v2, v[6:7], off
	s_add_u32 s0, s4, -1
	s_addc_u32 s1, s5, -1
	v_cmp_ne_u64_e32 vcc, s[0:1], v[0:1]
                                        ; implicit-def: $vgpr14
	s_and_saveexec_b64 s[0:1], vcc
	s_xor_b64 s[0:1], exec, s[0:1]
	s_cbranch_execz .LBB82_7
; %bb.6:
	global_load_dword v14, v[6:7], off offset:4
.LBB82_7:
	s_andn2_saveexec_b64 s[0:1], s[0:1]
	s_cbranch_execz .LBB82_9
; %bb.8:
	s_waitcnt vmcnt(0)
	v_mov_b32_e32 v14, s14
.LBB82_9:
	s_or_b64 exec, exec, s[0:1]
	s_waitcnt vmcnt(0)
	v_cmp_lt_i32_e32 vcc, v2, v14
	v_pk_mov_b32 v[6:7], 0, 0
	v_lshlrev_b64 v[4:5], 3, v[4:5]
	s_and_saveexec_b64 s[2:3], vcc
	s_cbranch_execz .LBB82_16
; %bb.10:
	v_mov_b32_e32 v3, s11
	v_add_co_u32_e32 v15, vcc, s10, v4
	v_addc_co_u32_e32 v16, vcc, v3, v5, vcc
	v_ashrrev_i32_e32 v3, 31, v2
	v_lshlrev_b64 v[6:7], 2, v[2:3]
	v_mov_b32_e32 v3, s9
	v_add_co_u32_e32 v8, vcc, s8, v6
	s_cmp_lg_u64 s[12:13], 0
	v_addc_co_u32_e32 v9, vcc, v3, v7, vcc
	v_mov_b32_e32 v3, s13
	v_add_co_u32_e32 v10, vcc, s12, v6
	s_cselect_b64 s[0:1], -1, 0
	v_addc_co_u32_e32 v11, vcc, v3, v7, vcc
	v_cndmask_b32_e64 v3, 0, 1, s[0:1]
	s_mov_b64 s[4:5], 0
	v_pk_mov_b32 v[6:7], 0, 0
	v_cmp_ne_u32_e64 s[0:1], 1, v3
	s_branch .LBB82_13
.LBB82_11:                              ;   in Loop: Header=BB82_13 Depth=1
	global_load_dword v12, v[10:11], off
	s_waitcnt vmcnt(0)
	v_cvt_f64_i32_e32 v[12:13], v12
	v_div_scale_f64 v[18:19], s[6:7], v[12:13], v[12:13], 1.0
	v_rcp_f64_e32 v[20:21], v[18:19]
	v_div_scale_f64 v[22:23], vcc, 1.0, v[12:13], 1.0
	v_fma_f64 v[24:25], -v[18:19], v[20:21], 1.0
	v_fmac_f64_e32 v[20:21], v[20:21], v[24:25]
	v_fma_f64 v[24:25], -v[18:19], v[20:21], 1.0
	v_fmac_f64_e32 v[20:21], v[20:21], v[24:25]
	v_mul_f64 v[24:25], v[22:23], v[20:21]
	v_fma_f64 v[18:19], -v[18:19], v[24:25], v[22:23]
	v_div_fmas_f64 v[18:19], v[18:19], v[20:21], v[24:25]
	v_div_fixup_f64 v[12:13], v[18:19], v[12:13], 1.0
.LBB82_12:                              ;   in Loop: Header=BB82_13 Depth=1
	s_waitcnt vmcnt(0)
	v_ashrrev_i32_e32 v17, 31, v3
	v_mul_lo_u32 v20, v3, s17
	v_mul_lo_u32 v17, v17, s16
	v_mad_u64_u32 v[18:19], s[6:7], v3, s16, 0
	v_add3_u32 v19, v19, v20, v17
	v_lshlrev_b64 v[18:19], 3, v[18:19]
	v_add_co_u32_e32 v18, vcc, v15, v18
	v_addc_co_u32_e32 v19, vcc, v16, v19, vcc
	global_load_dwordx2 v[18:19], v[18:19], off
	v_add_co_u32_e32 v8, vcc, 4, v8
	v_add_u32_e32 v2, 1, v2
	v_addc_co_u32_e32 v9, vcc, 0, v9, vcc
	v_cmp_ge_i32_e32 vcc, v2, v14
	s_or_b64 s[4:5], vcc, s[4:5]
	v_add_co_u32_e32 v10, vcc, 4, v10
	v_addc_co_u32_e32 v11, vcc, 0, v11, vcc
	s_waitcnt vmcnt(0)
	v_fmac_f64_e32 v[6:7], v[12:13], v[18:19]
	s_andn2_b64 exec, exec, s[4:5]
	s_cbranch_execz .LBB82_15
.LBB82_13:                              ; =>This Inner Loop Header: Depth=1
	global_load_dword v3, v[8:9], off
	s_and_b64 vcc, exec, s[0:1]
	s_cbranch_vccz .LBB82_11
; %bb.14:                               ;   in Loop: Header=BB82_13 Depth=1
	v_mov_b32_e32 v12, 0
	v_mov_b32_e32 v13, 0x3ff00000
	s_branch .LBB82_12
.LBB82_15:
	s_or_b64 exec, exec, s[4:5]
.LBB82_16:
	s_or_b64 exec, exec, s[2:3]
	v_mul_lo_u32 v2, v1, s16
	v_mul_lo_u32 v3, v0, s17
	v_mad_u64_u32 v[0:1], s[0:1], v0, s16, 0
	v_add3_u32 v1, v1, v3, v2
	v_lshlrev_b64 v[0:1], 3, v[0:1]
	v_mov_b32_e32 v2, s23
	v_add_co_u32_e32 v0, vcc, s22, v0
	v_addc_co_u32_e32 v1, vcc, v2, v1, vcc
	v_add_co_u32_e32 v0, vcc, v0, v4
	v_addc_co_u32_e32 v1, vcc, v1, v5, vcc
	global_store_dwordx2 v[0:1], v[6:7], off
.LBB82_17:
	s_endpgm
	.section	.rodata,"a",@progbits
	.p2align	6, 0x0
	.amdhsa_kernel _ZN2at6native12_GLOBAL__N_119compute_grad_weightIdiEEvPKT0_PKT_S5_llS5_PKlPNS_14AccumulateTypeIS6_Lb1EE4typeEl
		.amdhsa_group_segment_fixed_size 0
		.amdhsa_private_segment_fixed_size 0
		.amdhsa_kernarg_size 328
		.amdhsa_user_sgpr_count 6
		.amdhsa_user_sgpr_private_segment_buffer 1
		.amdhsa_user_sgpr_dispatch_ptr 0
		.amdhsa_user_sgpr_queue_ptr 0
		.amdhsa_user_sgpr_kernarg_segment_ptr 1
		.amdhsa_user_sgpr_dispatch_id 0
		.amdhsa_user_sgpr_flat_scratch_init 0
		.amdhsa_user_sgpr_kernarg_preload_length 0
		.amdhsa_user_sgpr_kernarg_preload_offset 0
		.amdhsa_user_sgpr_private_segment_size 0
		.amdhsa_uses_dynamic_stack 0
		.amdhsa_system_sgpr_private_segment_wavefront_offset 0
		.amdhsa_system_sgpr_workgroup_id_x 1
		.amdhsa_system_sgpr_workgroup_id_y 0
		.amdhsa_system_sgpr_workgroup_id_z 0
		.amdhsa_system_sgpr_workgroup_info 0
		.amdhsa_system_vgpr_workitem_id 0
		.amdhsa_next_free_vgpr 26
		.amdhsa_next_free_sgpr 26
		.amdhsa_accum_offset 28
		.amdhsa_reserve_vcc 1
		.amdhsa_reserve_flat_scratch 0
		.amdhsa_float_round_mode_32 0
		.amdhsa_float_round_mode_16_64 0
		.amdhsa_float_denorm_mode_32 3
		.amdhsa_float_denorm_mode_16_64 3
		.amdhsa_dx10_clamp 1
		.amdhsa_ieee_mode 1
		.amdhsa_fp16_overflow 0
		.amdhsa_tg_split 0
		.amdhsa_exception_fp_ieee_invalid_op 0
		.amdhsa_exception_fp_denorm_src 0
		.amdhsa_exception_fp_ieee_div_zero 0
		.amdhsa_exception_fp_ieee_overflow 0
		.amdhsa_exception_fp_ieee_underflow 0
		.amdhsa_exception_fp_ieee_inexact 0
		.amdhsa_exception_int_div_zero 0
	.end_amdhsa_kernel
	.section	.text._ZN2at6native12_GLOBAL__N_119compute_grad_weightIdiEEvPKT0_PKT_S5_llS5_PKlPNS_14AccumulateTypeIS6_Lb1EE4typeEl,"axG",@progbits,_ZN2at6native12_GLOBAL__N_119compute_grad_weightIdiEEvPKT0_PKT_S5_llS5_PKlPNS_14AccumulateTypeIS6_Lb1EE4typeEl,comdat
.Lfunc_end82:
	.size	_ZN2at6native12_GLOBAL__N_119compute_grad_weightIdiEEvPKT0_PKT_S5_llS5_PKlPNS_14AccumulateTypeIS6_Lb1EE4typeEl, .Lfunc_end82-_ZN2at6native12_GLOBAL__N_119compute_grad_weightIdiEEvPKT0_PKT_S5_llS5_PKlPNS_14AccumulateTypeIS6_Lb1EE4typeEl
                                        ; -- End function
	.section	.AMDGPU.csdata,"",@progbits
; Kernel info:
; codeLenInByte = 1456
; NumSgprs: 30
; NumVgprs: 26
; NumAgprs: 0
; TotalNumVgprs: 26
; ScratchSize: 0
; MemoryBound: 0
; FloatMode: 240
; IeeeMode: 1
; LDSByteSize: 0 bytes/workgroup (compile time only)
; SGPRBlocks: 3
; VGPRBlocks: 3
; NumSGPRsForWavesPerEU: 30
; NumVGPRsForWavesPerEU: 26
; AccumOffset: 28
; Occupancy: 8
; WaveLimiterHint : 1
; COMPUTE_PGM_RSRC2:SCRATCH_EN: 0
; COMPUTE_PGM_RSRC2:USER_SGPR: 6
; COMPUTE_PGM_RSRC2:TRAP_HANDLER: 0
; COMPUTE_PGM_RSRC2:TGID_X_EN: 1
; COMPUTE_PGM_RSRC2:TGID_Y_EN: 0
; COMPUTE_PGM_RSRC2:TGID_Z_EN: 0
; COMPUTE_PGM_RSRC2:TIDIG_COMP_CNT: 0
; COMPUTE_PGM_RSRC3_GFX90A:ACCUM_OFFSET: 6
; COMPUTE_PGM_RSRC3_GFX90A:TG_SPLIT: 0
	.section	.text._ZN2at6native12_GLOBAL__N_115sum_and_scatterIdiEEvPKT0_PT_lS5_PKlPKNS_14AccumulateTypeIS6_Lb1EE4typeES5_S9_ll,"axG",@progbits,_ZN2at6native12_GLOBAL__N_115sum_and_scatterIdiEEvPKT0_PT_lS5_PKlPKNS_14AccumulateTypeIS6_Lb1EE4typeES5_S9_ll,comdat
	.globl	_ZN2at6native12_GLOBAL__N_115sum_and_scatterIdiEEvPKT0_PT_lS5_PKlPKNS_14AccumulateTypeIS6_Lb1EE4typeES5_S9_ll ; -- Begin function _ZN2at6native12_GLOBAL__N_115sum_and_scatterIdiEEvPKT0_PT_lS5_PKlPKNS_14AccumulateTypeIS6_Lb1EE4typeES5_S9_ll
	.p2align	8
	.type	_ZN2at6native12_GLOBAL__N_115sum_and_scatterIdiEEvPKT0_PT_lS5_PKlPKNS_14AccumulateTypeIS6_Lb1EE4typeES5_S9_ll,@function
_ZN2at6native12_GLOBAL__N_115sum_and_scatterIdiEEvPKT0_PT_lS5_PKlPKNS_14AccumulateTypeIS6_Lb1EE4typeES5_S9_ll: ; @_ZN2at6native12_GLOBAL__N_115sum_and_scatterIdiEEvPKT0_PT_lS5_PKlPKNS_14AccumulateTypeIS6_Lb1EE4typeES5_S9_ll
; %bb.0:
	s_load_dword s0, s[4:5], 0x5c
	s_load_dwordx4 s[24:27], s[4:5], 0x40
	s_load_dwordx16 s[8:23], s[4:5], 0x0
	v_mov_b32_e32 v1, 0
	v_mov_b32_e32 v2, s6
	s_waitcnt lgkmcnt(0)
	s_and_b32 s0, s0, 0xffff
	v_mad_u64_u32 v[2:3], s[0:1], s0, v2, v[0:1]
	v_or_b32_e32 v5, s27, v3
	v_mov_b32_e32 v4, v1
	v_cmp_ne_u64_e32 vcc, 0, v[4:5]
                                        ; implicit-def: $vgpr6_vgpr7
	s_and_saveexec_b64 s[0:1], vcc
	s_xor_b64 s[2:3], exec, s[0:1]
	s_cbranch_execz .LBB83_2
; %bb.1:
	s_ashr_i32 s4, s27, 31
	s_add_u32 s0, s26, s4
	s_mov_b32 s5, s4
	s_addc_u32 s1, s27, s4
	s_xor_b64 s[6:7], s[0:1], s[4:5]
	v_cvt_f32_u32_e32 v0, s6
	v_cvt_f32_u32_e32 v1, s7
	s_sub_u32 s0, 0, s6
	s_subb_u32 s1, 0, s7
	v_madmk_f32 v0, v1, 0x4f800000, v0
	v_rcp_f32_e32 v0, v0
	v_mul_f32_e32 v0, 0x5f7ffffc, v0
	v_mul_f32_e32 v1, 0x2f800000, v0
	v_trunc_f32_e32 v1, v1
	v_madmk_f32 v0, v1, 0xcf800000, v0
	v_cvt_u32_f32_e32 v1, v1
	v_cvt_u32_f32_e32 v0, v0
	v_mul_lo_u32 v4, s0, v1
	v_mul_hi_u32 v6, s0, v0
	v_mul_lo_u32 v5, s1, v0
	v_add_u32_e32 v4, v6, v4
	v_mul_lo_u32 v7, s0, v0
	v_add_u32_e32 v4, v4, v5
	v_mul_lo_u32 v6, v0, v4
	v_mul_hi_u32 v8, v0, v7
	v_mul_hi_u32 v5, v0, v4
	v_add_co_u32_e32 v6, vcc, v8, v6
	v_addc_co_u32_e32 v5, vcc, 0, v5, vcc
	v_mul_hi_u32 v9, v1, v7
	v_mul_lo_u32 v7, v1, v7
	v_add_co_u32_e32 v6, vcc, v6, v7
	v_mul_hi_u32 v8, v1, v4
	v_addc_co_u32_e32 v5, vcc, v5, v9, vcc
	v_addc_co_u32_e32 v6, vcc, 0, v8, vcc
	v_mul_lo_u32 v4, v1, v4
	v_add_co_u32_e32 v4, vcc, v5, v4
	v_addc_co_u32_e32 v5, vcc, 0, v6, vcc
	v_add_co_u32_e32 v0, vcc, v0, v4
	v_addc_co_u32_e32 v1, vcc, v1, v5, vcc
	v_mul_lo_u32 v4, s0, v1
	v_mul_hi_u32 v5, s0, v0
	v_add_u32_e32 v4, v5, v4
	v_mul_lo_u32 v5, s1, v0
	v_add_u32_e32 v4, v4, v5
	v_mul_lo_u32 v6, s0, v0
	v_mul_hi_u32 v7, v1, v6
	v_mul_lo_u32 v8, v1, v6
	v_mul_lo_u32 v10, v0, v4
	v_mul_hi_u32 v6, v0, v6
	v_mul_hi_u32 v9, v0, v4
	v_add_co_u32_e32 v6, vcc, v6, v10
	v_addc_co_u32_e32 v9, vcc, 0, v9, vcc
	v_add_co_u32_e32 v6, vcc, v6, v8
	v_mul_hi_u32 v5, v1, v4
	v_addc_co_u32_e32 v6, vcc, v9, v7, vcc
	v_addc_co_u32_e32 v5, vcc, 0, v5, vcc
	v_mul_lo_u32 v4, v1, v4
	v_add_co_u32_e32 v4, vcc, v6, v4
	v_addc_co_u32_e32 v5, vcc, 0, v5, vcc
	v_add_co_u32_e32 v4, vcc, v0, v4
	v_addc_co_u32_e32 v5, vcc, v1, v5, vcc
	v_ashrrev_i32_e32 v6, 31, v3
	v_add_co_u32_e32 v0, vcc, v2, v6
	v_addc_co_u32_e32 v1, vcc, v3, v6, vcc
	v_xor_b32_e32 v8, v0, v6
	v_xor_b32_e32 v7, v1, v6
	v_mad_u64_u32 v[0:1], s[0:1], v8, v5, 0
	v_mul_hi_u32 v9, v8, v4
	v_add_co_u32_e32 v9, vcc, v9, v0
	v_addc_co_u32_e32 v10, vcc, 0, v1, vcc
	v_mad_u64_u32 v[0:1], s[0:1], v7, v5, 0
	v_mad_u64_u32 v[4:5], s[0:1], v7, v4, 0
	v_add_co_u32_e32 v4, vcc, v9, v4
	v_addc_co_u32_e32 v4, vcc, v10, v5, vcc
	v_addc_co_u32_e32 v1, vcc, 0, v1, vcc
	v_add_co_u32_e32 v4, vcc, v4, v0
	v_addc_co_u32_e32 v5, vcc, 0, v1, vcc
	v_mul_lo_u32 v9, s7, v4
	v_mul_lo_u32 v10, s6, v5
	v_mad_u64_u32 v[0:1], s[0:1], s6, v4, 0
	v_add3_u32 v1, v1, v10, v9
	v_sub_u32_e32 v9, v7, v1
	v_mov_b32_e32 v10, s7
	v_sub_co_u32_e32 v0, vcc, v8, v0
	v_subb_co_u32_e64 v8, s[0:1], v9, v10, vcc
	v_subrev_co_u32_e64 v9, s[0:1], s6, v0
	v_subbrev_co_u32_e64 v8, s[0:1], 0, v8, s[0:1]
	v_cmp_le_u32_e64 s[0:1], s7, v8
	v_cndmask_b32_e64 v10, 0, -1, s[0:1]
	v_cmp_le_u32_e64 s[0:1], s6, v9
	v_cndmask_b32_e64 v9, 0, -1, s[0:1]
	v_cmp_eq_u32_e64 s[0:1], s7, v8
	v_cndmask_b32_e64 v8, v10, v9, s[0:1]
	v_add_co_u32_e64 v9, s[0:1], 2, v4
	v_subb_co_u32_e32 v1, vcc, v7, v1, vcc
	v_addc_co_u32_e64 v10, s[0:1], 0, v5, s[0:1]
	v_cmp_le_u32_e32 vcc, s7, v1
	v_add_co_u32_e64 v11, s[0:1], 1, v4
	v_cndmask_b32_e64 v7, 0, -1, vcc
	v_cmp_le_u32_e32 vcc, s6, v0
	v_addc_co_u32_e64 v12, s[0:1], 0, v5, s[0:1]
	v_cndmask_b32_e64 v0, 0, -1, vcc
	v_cmp_eq_u32_e32 vcc, s7, v1
	v_cmp_ne_u32_e64 s[0:1], 0, v8
	v_cndmask_b32_e32 v0, v7, v0, vcc
	v_cmp_ne_u32_e32 vcc, 0, v0
	v_cndmask_b32_e64 v1, v11, v9, s[0:1]
	v_cndmask_b32_e64 v8, v12, v10, s[0:1]
	v_cndmask_b32_e32 v1, v4, v1, vcc
	v_xor_b32_e32 v4, s4, v6
	v_cndmask_b32_e32 v0, v5, v8, vcc
	v_xor_b32_e32 v1, v1, v4
	v_xor_b32_e32 v0, v0, v4
	v_sub_co_u32_e32 v6, vcc, v1, v4
	v_subb_co_u32_e32 v7, vcc, v0, v4, vcc
.LBB83_2:
	s_or_saveexec_b64 s[0:1], s[2:3]
	s_load_dwordx2 s[2:3], s[16:17], 0x0
	s_xor_b64 exec, exec, s[0:1]
	s_cbranch_execz .LBB83_4
; %bb.3:
	v_cvt_f32_u32_e32 v0, s26
	s_sub_i32 s4, 0, s26
	v_mov_b32_e32 v7, 0
	v_rcp_iflag_f32_e32 v0, v0
	v_mul_f32_e32 v0, 0x4f7ffffe, v0
	v_cvt_u32_f32_e32 v0, v0
	v_mul_lo_u32 v1, s4, v0
	v_mul_hi_u32 v1, v0, v1
	v_add_u32_e32 v0, v0, v1
	v_mul_hi_u32 v0, v2, v0
	v_mul_lo_u32 v1, v0, s26
	v_sub_u32_e32 v1, v2, v1
	v_add_u32_e32 v4, 1, v0
	v_subrev_u32_e32 v5, s26, v1
	v_cmp_le_u32_e32 vcc, s26, v1
	v_cndmask_b32_e32 v1, v1, v5, vcc
	v_cndmask_b32_e32 v0, v0, v4, vcc
	v_add_u32_e32 v4, 1, v0
	v_cmp_le_u32_e32 vcc, s26, v1
	v_cndmask_b32_e32 v6, v0, v4, vcc
.LBB83_4:
	s_or_b64 exec, exec, s[0:1]
	v_mul_lo_u32 v0, v7, s26
	v_mul_lo_u32 v1, v6, s27
	v_mad_u64_u32 v[8:9], s[0:1], v6, s26, 0
	v_add3_u32 v9, v9, v1, v0
	v_sub_co_u32_e32 v0, vcc, v2, v8
	v_subb_co_u32_e32 v1, vcc, v3, v9, vcc
	v_cmp_gt_i64_e32 vcc, s[12:13], v[0:1]
	s_waitcnt lgkmcnt(0)
	v_cmp_gt_i64_e64 s[0:1], s[2:3], v[6:7]
	s_and_b64 s[0:1], vcc, s[0:1]
	s_and_saveexec_b64 s[4:5], s[0:1]
	s_cbranch_execz .LBB83_15
; %bb.5:
	v_lshlrev_b64 v[4:5], 2, v[6:7]
	v_mov_b32_e32 v11, s21
	v_add_co_u32_e32 v10, vcc, s20, v4
	v_addc_co_u32_e32 v11, vcc, v11, v5, vcc
	global_load_dword v12, v[10:11], off
	s_add_u32 s0, s2, -1
	s_addc_u32 s1, s3, -1
	v_cmp_ne_u64_e32 vcc, s[0:1], v[6:7]
                                        ; implicit-def: $vgpr13
	s_and_saveexec_b64 s[0:1], vcc
	s_xor_b64 s[0:1], exec, s[0:1]
	s_cbranch_execz .LBB83_7
; %bb.6:
	global_load_dword v13, v[10:11], off offset:4
.LBB83_7:
	s_andn2_saveexec_b64 s[0:1], s[0:1]
	s_cbranch_execz .LBB83_9
; %bb.8:
	s_load_dwordx2 s[2:3], s[22:23], 0x0
	s_waitcnt vmcnt(0) lgkmcnt(0)
	v_mov_b32_e32 v13, s2
.LBB83_9:
	s_or_b64 exec, exec, s[0:1]
	s_waitcnt vmcnt(0)
	v_cmp_lt_i32_e32 vcc, v12, v13
	v_pk_mov_b32 v[6:7], 0, 0
	s_and_saveexec_b64 s[0:1], vcc
	s_cbranch_execz .LBB83_13
; %bb.10:
	v_ashrrev_i32_e32 v6, 31, v12
	v_mul_lo_u32 v10, s13, v12
	v_mul_lo_u32 v11, s12, v6
	v_mad_u64_u32 v[6:7], s[2:3], s12, v12, 0
	v_add3_u32 v7, v7, v11, v10
	v_lshlrev_b64 v[6:7], 3, v[6:7]
	v_lshlrev_b64 v[2:3], 3, v[2:3]
	v_add_co_u32_e32 v6, vcc, v6, v2
	v_addc_co_u32_e32 v7, vcc, v7, v3, vcc
	v_lshlrev_b64 v[2:3], 3, v[8:9]
	v_sub_co_u32_e32 v2, vcc, v6, v2
	v_subb_co_u32_e32 v3, vcc, v7, v3, vcc
	v_mov_b32_e32 v6, s19
	v_add_co_u32_e32 v2, vcc, s18, v2
	s_lshl_b64 s[4:5], s[12:13], 3
	v_addc_co_u32_e32 v3, vcc, v6, v3, vcc
	s_mov_b64 s[2:3], 0
	v_pk_mov_b32 v[6:7], 0, 0
	v_mov_b32_e32 v8, s5
.LBB83_11:                              ; =>This Inner Loop Header: Depth=1
	global_load_dwordx2 v[10:11], v[2:3], off
	v_add_co_u32_e32 v2, vcc, s4, v2
	v_add_u32_e32 v12, 1, v12
	v_addc_co_u32_e32 v3, vcc, v3, v8, vcc
	v_cmp_ge_i32_e32 vcc, v12, v13
	s_or_b64 s[2:3], vcc, s[2:3]
	s_waitcnt vmcnt(0)
	v_add_f64 v[6:7], v[6:7], v[10:11]
	s_andn2_b64 exec, exec, s[2:3]
	s_cbranch_execnz .LBB83_11
; %bb.12:
	s_or_b64 exec, exec, s[2:3]
.LBB83_13:
	s_or_b64 exec, exec, s[0:1]
	v_mov_b32_e32 v3, s15
	v_add_co_u32_e32 v2, vcc, s14, v4
	v_addc_co_u32_e32 v3, vcc, v3, v5, vcc
	global_load_dword v2, v[2:3], off
	v_mov_b32_e32 v4, s9
	s_waitcnt vmcnt(0)
	v_ashrrev_i32_e32 v3, 31, v2
	v_lshlrev_b64 v[2:3], 2, v[2:3]
	v_add_co_u32_e32 v2, vcc, s8, v2
	v_addc_co_u32_e32 v3, vcc, v4, v3, vcc
	global_load_dword v2, v[2:3], off
	s_waitcnt vmcnt(0)
	v_ashrrev_i32_e32 v3, 31, v2
	v_cmp_ne_u64_e32 vcc, s[24:25], v[2:3]
	s_and_b64 exec, exec, vcc
	s_cbranch_execz .LBB83_15
; %bb.14:
	v_mul_lo_u32 v4, v3, s12
	v_mul_lo_u32 v5, v2, s13
	v_mad_u64_u32 v[2:3], s[0:1], v2, s12, 0
	v_add3_u32 v3, v3, v5, v4
	v_lshlrev_b64 v[2:3], 3, v[2:3]
	v_mov_b32_e32 v4, s11
	v_add_co_u32_e32 v2, vcc, s10, v2
	v_addc_co_u32_e32 v3, vcc, v4, v3, vcc
	v_lshlrev_b64 v[0:1], 3, v[0:1]
	v_add_co_u32_e32 v0, vcc, v2, v0
	v_addc_co_u32_e32 v1, vcc, v3, v1, vcc
	global_store_dwordx2 v[0:1], v[6:7], off
.LBB83_15:
	s_endpgm
	.section	.rodata,"a",@progbits
	.p2align	6, 0x0
	.amdhsa_kernel _ZN2at6native12_GLOBAL__N_115sum_and_scatterIdiEEvPKT0_PT_lS5_PKlPKNS_14AccumulateTypeIS6_Lb1EE4typeES5_S9_ll
		.amdhsa_group_segment_fixed_size 0
		.amdhsa_private_segment_fixed_size 0
		.amdhsa_kernarg_size 336
		.amdhsa_user_sgpr_count 6
		.amdhsa_user_sgpr_private_segment_buffer 1
		.amdhsa_user_sgpr_dispatch_ptr 0
		.amdhsa_user_sgpr_queue_ptr 0
		.amdhsa_user_sgpr_kernarg_segment_ptr 1
		.amdhsa_user_sgpr_dispatch_id 0
		.amdhsa_user_sgpr_flat_scratch_init 0
		.amdhsa_user_sgpr_kernarg_preload_length 0
		.amdhsa_user_sgpr_kernarg_preload_offset 0
		.amdhsa_user_sgpr_private_segment_size 0
		.amdhsa_uses_dynamic_stack 0
		.amdhsa_system_sgpr_private_segment_wavefront_offset 0
		.amdhsa_system_sgpr_workgroup_id_x 1
		.amdhsa_system_sgpr_workgroup_id_y 0
		.amdhsa_system_sgpr_workgroup_id_z 0
		.amdhsa_system_sgpr_workgroup_info 0
		.amdhsa_system_vgpr_workitem_id 0
		.amdhsa_next_free_vgpr 14
		.amdhsa_next_free_sgpr 28
		.amdhsa_accum_offset 16
		.amdhsa_reserve_vcc 1
		.amdhsa_reserve_flat_scratch 0
		.amdhsa_float_round_mode_32 0
		.amdhsa_float_round_mode_16_64 0
		.amdhsa_float_denorm_mode_32 3
		.amdhsa_float_denorm_mode_16_64 3
		.amdhsa_dx10_clamp 1
		.amdhsa_ieee_mode 1
		.amdhsa_fp16_overflow 0
		.amdhsa_tg_split 0
		.amdhsa_exception_fp_ieee_invalid_op 0
		.amdhsa_exception_fp_denorm_src 0
		.amdhsa_exception_fp_ieee_div_zero 0
		.amdhsa_exception_fp_ieee_overflow 0
		.amdhsa_exception_fp_ieee_underflow 0
		.amdhsa_exception_fp_ieee_inexact 0
		.amdhsa_exception_int_div_zero 0
	.end_amdhsa_kernel
	.section	.text._ZN2at6native12_GLOBAL__N_115sum_and_scatterIdiEEvPKT0_PT_lS5_PKlPKNS_14AccumulateTypeIS6_Lb1EE4typeES5_S9_ll,"axG",@progbits,_ZN2at6native12_GLOBAL__N_115sum_and_scatterIdiEEvPKT0_PT_lS5_PKlPKNS_14AccumulateTypeIS6_Lb1EE4typeES5_S9_ll,comdat
.Lfunc_end83:
	.size	_ZN2at6native12_GLOBAL__N_115sum_and_scatterIdiEEvPKT0_PT_lS5_PKlPKNS_14AccumulateTypeIS6_Lb1EE4typeES5_S9_ll, .Lfunc_end83-_ZN2at6native12_GLOBAL__N_115sum_and_scatterIdiEEvPKT0_PT_lS5_PKlPKNS_14AccumulateTypeIS6_Lb1EE4typeES5_S9_ll
                                        ; -- End function
	.section	.AMDGPU.csdata,"",@progbits
; Kernel info:
; codeLenInByte = 1376
; NumSgprs: 32
; NumVgprs: 14
; NumAgprs: 0
; TotalNumVgprs: 14
; ScratchSize: 0
; MemoryBound: 0
; FloatMode: 240
; IeeeMode: 1
; LDSByteSize: 0 bytes/workgroup (compile time only)
; SGPRBlocks: 3
; VGPRBlocks: 1
; NumSGPRsForWavesPerEU: 32
; NumVGPRsForWavesPerEU: 14
; AccumOffset: 16
; Occupancy: 8
; WaveLimiterHint : 1
; COMPUTE_PGM_RSRC2:SCRATCH_EN: 0
; COMPUTE_PGM_RSRC2:USER_SGPR: 6
; COMPUTE_PGM_RSRC2:TRAP_HANDLER: 0
; COMPUTE_PGM_RSRC2:TGID_X_EN: 1
; COMPUTE_PGM_RSRC2:TGID_Y_EN: 0
; COMPUTE_PGM_RSRC2:TGID_Z_EN: 0
; COMPUTE_PGM_RSRC2:TIDIG_COMP_CNT: 0
; COMPUTE_PGM_RSRC3_GFX90A:ACCUM_OFFSET: 3
; COMPUTE_PGM_RSRC3_GFX90A:TG_SPLIT: 0
	.section	.text._ZN2at6native12_GLOBAL__N_137compute_grad_weight_atomic_accumulateIffiEEvPKT1_PKT_S5_llS5_PKlS5_S5_S5_PT0_ll,"axG",@progbits,_ZN2at6native12_GLOBAL__N_137compute_grad_weight_atomic_accumulateIffiEEvPKT1_PKT_S5_llS5_PKlS5_S5_S5_PT0_ll,comdat
	.globl	_ZN2at6native12_GLOBAL__N_137compute_grad_weight_atomic_accumulateIffiEEvPKT1_PKT_S5_llS5_PKlS5_S5_S5_PT0_ll ; -- Begin function _ZN2at6native12_GLOBAL__N_137compute_grad_weight_atomic_accumulateIffiEEvPKT1_PKT_S5_llS5_PKlS5_S5_S5_PT0_ll
	.p2align	8
	.type	_ZN2at6native12_GLOBAL__N_137compute_grad_weight_atomic_accumulateIffiEEvPKT1_PKT_S5_llS5_PKlS5_S5_S5_PT0_ll,@function
_ZN2at6native12_GLOBAL__N_137compute_grad_weight_atomic_accumulateIffiEEvPKT1_PKT_S5_llS5_PKlS5_S5_S5_PT0_ll: ; @_ZN2at6native12_GLOBAL__N_137compute_grad_weight_atomic_accumulateIffiEEvPKT1_PKT_S5_llS5_PKlS5_S5_S5_PT0_ll
; %bb.0:
	s_load_dword s0, s[4:5], 0x74
	s_load_dwordx2 s[2:3], s[4:5], 0x60
	v_mov_b32_e32 v2, 0
	s_waitcnt lgkmcnt(0)
	s_and_b32 s0, s0, 0xffff
	s_mul_i32 s6, s6, s0
	v_add_u32_e32 v0, s6, v0
	v_ashrrev_i32_e32 v1, 31, v0
	v_or_b32_e32 v3, s3, v1
	v_cmp_ne_u64_e32 vcc, 0, v[2:3]
                                        ; implicit-def: $vgpr2_vgpr3
	s_and_saveexec_b64 s[0:1], vcc
	s_xor_b64 s[6:7], exec, s[0:1]
	s_cbranch_execz .LBB84_2
; %bb.1:
	s_ashr_i32 s8, s3, 31
	s_add_u32 s0, s2, s8
	s_mov_b32 s9, s8
	s_addc_u32 s1, s3, s8
	s_xor_b64 s[10:11], s[0:1], s[8:9]
	v_cvt_f32_u32_e32 v2, s10
	v_cvt_f32_u32_e32 v3, s11
	s_sub_u32 s0, 0, s10
	s_subb_u32 s1, 0, s11
	v_madmk_f32 v2, v3, 0x4f800000, v2
	v_rcp_f32_e32 v2, v2
	v_mul_f32_e32 v2, 0x5f7ffffc, v2
	v_mul_f32_e32 v3, 0x2f800000, v2
	v_trunc_f32_e32 v3, v3
	v_madmk_f32 v2, v3, 0xcf800000, v2
	v_cvt_u32_f32_e32 v3, v3
	v_cvt_u32_f32_e32 v2, v2
	v_mul_lo_u32 v4, s0, v3
	v_mul_hi_u32 v6, s0, v2
	v_mul_lo_u32 v5, s1, v2
	v_add_u32_e32 v4, v6, v4
	v_mul_lo_u32 v7, s0, v2
	v_add_u32_e32 v4, v4, v5
	v_mul_lo_u32 v6, v2, v4
	v_mul_hi_u32 v8, v2, v7
	v_mul_hi_u32 v5, v2, v4
	v_add_co_u32_e32 v6, vcc, v8, v6
	v_addc_co_u32_e32 v5, vcc, 0, v5, vcc
	v_mul_hi_u32 v9, v3, v7
	v_mul_lo_u32 v7, v3, v7
	v_add_co_u32_e32 v6, vcc, v6, v7
	v_mul_hi_u32 v8, v3, v4
	v_addc_co_u32_e32 v5, vcc, v5, v9, vcc
	v_addc_co_u32_e32 v6, vcc, 0, v8, vcc
	v_mul_lo_u32 v4, v3, v4
	v_add_co_u32_e32 v4, vcc, v5, v4
	v_addc_co_u32_e32 v5, vcc, 0, v6, vcc
	v_add_co_u32_e32 v2, vcc, v2, v4
	v_addc_co_u32_e32 v3, vcc, v3, v5, vcc
	v_mul_lo_u32 v4, s0, v3
	v_mul_hi_u32 v5, s0, v2
	v_add_u32_e32 v4, v5, v4
	v_mul_lo_u32 v5, s1, v2
	v_add_u32_e32 v4, v4, v5
	v_mul_lo_u32 v6, s0, v2
	v_mul_hi_u32 v7, v3, v6
	v_mul_lo_u32 v8, v3, v6
	v_mul_lo_u32 v10, v2, v4
	v_mul_hi_u32 v6, v2, v6
	v_mul_hi_u32 v9, v2, v4
	v_add_co_u32_e32 v6, vcc, v6, v10
	v_addc_co_u32_e32 v9, vcc, 0, v9, vcc
	v_add_co_u32_e32 v6, vcc, v6, v8
	v_mul_hi_u32 v5, v3, v4
	v_addc_co_u32_e32 v6, vcc, v9, v7, vcc
	v_addc_co_u32_e32 v5, vcc, 0, v5, vcc
	v_mul_lo_u32 v4, v3, v4
	v_add_co_u32_e32 v4, vcc, v6, v4
	v_addc_co_u32_e32 v5, vcc, 0, v5, vcc
	v_add_co_u32_e32 v6, vcc, v2, v4
	v_addc_co_u32_e32 v7, vcc, v3, v5, vcc
	v_mov_b32_e32 v2, v1
	v_mov_b32_e32 v3, v1
	v_add_co_u32_e32 v4, vcc, v0, v2
	v_addc_co_u32_e32 v5, vcc, v1, v3, vcc
	v_xor_b32_e32 v9, v4, v2
	v_xor_b32_e32 v8, v5, v3
	v_mad_u64_u32 v[4:5], s[0:1], v9, v7, 0
	v_mul_hi_u32 v10, v9, v6
	v_add_co_u32_e32 v10, vcc, v10, v4
	v_addc_co_u32_e32 v11, vcc, 0, v5, vcc
	v_mad_u64_u32 v[4:5], s[0:1], v8, v7, 0
	v_mad_u64_u32 v[6:7], s[0:1], v8, v6, 0
	v_add_co_u32_e32 v6, vcc, v10, v6
	v_addc_co_u32_e32 v6, vcc, v11, v7, vcc
	v_addc_co_u32_e32 v5, vcc, 0, v5, vcc
	v_add_co_u32_e32 v6, vcc, v6, v4
	v_addc_co_u32_e32 v7, vcc, 0, v5, vcc
	v_mul_lo_u32 v10, s11, v6
	v_mul_lo_u32 v11, s10, v7
	v_mad_u64_u32 v[4:5], s[0:1], s10, v6, 0
	v_add3_u32 v5, v5, v11, v10
	v_sub_u32_e32 v10, v8, v5
	v_mov_b32_e32 v11, s11
	v_sub_co_u32_e32 v4, vcc, v9, v4
	v_subb_co_u32_e64 v9, s[0:1], v10, v11, vcc
	v_subrev_co_u32_e64 v10, s[0:1], s10, v4
	v_subbrev_co_u32_e64 v9, s[0:1], 0, v9, s[0:1]
	v_cmp_le_u32_e64 s[0:1], s11, v9
	v_cndmask_b32_e64 v11, 0, -1, s[0:1]
	v_cmp_le_u32_e64 s[0:1], s10, v10
	v_cndmask_b32_e64 v10, 0, -1, s[0:1]
	v_cmp_eq_u32_e64 s[0:1], s11, v9
	v_cndmask_b32_e64 v9, v11, v10, s[0:1]
	v_add_co_u32_e64 v10, s[0:1], 2, v6
	v_subb_co_u32_e32 v5, vcc, v8, v5, vcc
	v_addc_co_u32_e64 v11, s[0:1], 0, v7, s[0:1]
	v_cmp_le_u32_e32 vcc, s11, v5
	v_add_co_u32_e64 v12, s[0:1], 1, v6
	v_cndmask_b32_e64 v8, 0, -1, vcc
	v_cmp_le_u32_e32 vcc, s10, v4
	v_addc_co_u32_e64 v13, s[0:1], 0, v7, s[0:1]
	v_cndmask_b32_e64 v4, 0, -1, vcc
	v_cmp_eq_u32_e32 vcc, s11, v5
	v_cmp_ne_u32_e64 s[0:1], 0, v9
	v_cndmask_b32_e32 v4, v8, v4, vcc
	v_cmp_ne_u32_e32 vcc, 0, v4
	v_cndmask_b32_e64 v5, v12, v10, s[0:1]
	v_cndmask_b32_e64 v9, v13, v11, s[0:1]
	v_cndmask_b32_e32 v5, v6, v5, vcc
	v_xor_b32_e32 v2, s8, v2
	v_cndmask_b32_e32 v4, v7, v9, vcc
	v_xor_b32_e32 v3, s8, v3
	v_xor_b32_e32 v5, v5, v2
	;; [unrolled: 1-line block ×3, first 2 shown]
	v_sub_co_u32_e32 v2, vcc, v5, v2
	v_subb_co_u32_e32 v3, vcc, v4, v3, vcc
.LBB84_2:
	s_or_saveexec_b64 s[0:1], s[6:7]
	s_load_dwordx16 s[8:23], s[4:5], 0x0
	s_xor_b64 exec, exec, s[0:1]
	s_cbranch_execz .LBB84_4
; %bb.3:
	v_cvt_f32_u32_e32 v2, s2
	s_sub_i32 s6, 0, s2
	v_rcp_iflag_f32_e32 v2, v2
	v_mul_f32_e32 v2, 0x4f7ffffe, v2
	v_cvt_u32_f32_e32 v2, v2
	v_mul_lo_u32 v3, s6, v2
	v_mul_hi_u32 v3, v2, v3
	v_add_u32_e32 v2, v2, v3
	v_mul_hi_u32 v2, v0, v2
	v_mul_lo_u32 v3, v2, s2
	v_sub_u32_e32 v3, v0, v3
	v_add_u32_e32 v4, 1, v2
	v_subrev_u32_e32 v5, s2, v3
	v_cmp_le_u32_e32 vcc, s2, v3
	v_cndmask_b32_e32 v3, v3, v5, vcc
	v_cndmask_b32_e32 v2, v2, v4, vcc
	v_add_u32_e32 v4, 1, v2
	v_cmp_le_u32_e32 vcc, s2, v3
	v_cndmask_b32_e32 v2, v2, v4, vcc
	v_mov_b32_e32 v3, 0
.LBB84_4:
	s_or_b64 exec, exec, s[0:1]
	v_mul_lo_u32 v3, v3, s2
	v_mul_lo_u32 v6, v2, s3
	v_mad_u64_u32 v[4:5], s[0:1], v2, s2, 0
	v_add3_u32 v3, v5, v6, v3
	v_sub_co_u32_e32 v6, vcc, v0, v4
	v_subb_co_u32_e32 v7, vcc, v1, v3, vcc
	s_waitcnt lgkmcnt(0)
	v_cmp_gt_i64_e32 vcc, s[16:17], v[6:7]
	s_and_saveexec_b64 s[0:1], vcc
	s_cbranch_execz .LBB84_19
; %bb.5:
	s_load_dwordx2 s[0:1], s[20:21], 0x0
	v_ashrrev_i32_e32 v3, 31, v2
	s_waitcnt lgkmcnt(0)
	v_cmp_gt_i64_e32 vcc, s[0:1], v[2:3]
	s_and_b64 exec, exec, vcc
	s_cbranch_execz .LBB84_19
; %bb.6:
	v_lshlrev_b64 v[0:1], 2, v[2:3]
	v_mov_b32_e32 v5, s19
	v_add_co_u32_e32 v4, vcc, s18, v0
	v_addc_co_u32_e32 v5, vcc, v5, v1, vcc
	global_load_dword v4, v[4:5], off
	s_add_u32 s0, s0, -1
	s_addc_u32 s1, s1, -1
	v_cmp_ne_u64_e32 vcc, s[0:1], v[2:3]
                                        ; implicit-def: $vgpr10
	s_and_saveexec_b64 s[0:1], vcc
	s_xor_b64 s[0:1], exec, s[0:1]
	s_cbranch_execz .LBB84_8
; %bb.7:
	v_mov_b32_e32 v3, v2
	v_add_co_u32_e64 v2, vcc, 0, 0
	v_addc_co_u32_e32 v3, vcc, 1, v3, vcc
	v_ashrrev_i64 v[2:3], 30, v[2:3]
	v_mov_b32_e32 v5, s19
	v_add_co_u32_e32 v2, vcc, s18, v2
	v_addc_co_u32_e32 v3, vcc, v5, v3, vcc
	global_load_dword v10, v[2:3], off
.LBB84_8:
	s_or_saveexec_b64 s[0:1], s[0:1]
	s_load_dwordx8 s[24:31], s[4:5], 0x40
	s_xor_b64 exec, exec, s[0:1]
	s_cbranch_execz .LBB84_10
; %bb.9:
	s_waitcnt vmcnt(0)
	v_mov_b32_e32 v10, s14
.LBB84_10:
	s_or_b64 exec, exec, s[0:1]
	s_waitcnt vmcnt(0)
	v_cmp_lt_i32_e32 vcc, v4, v10
	v_mov_b32_e32 v5, 0
	v_lshlrev_b64 v[2:3], 2, v[6:7]
	s_and_saveexec_b64 s[2:3], vcc
	s_cbranch_execz .LBB84_17
; %bb.11:
	v_mov_b32_e32 v5, s11
	v_add_co_u32_e32 v11, vcc, s10, v2
	v_addc_co_u32_e32 v12, vcc, v5, v3, vcc
	v_ashrrev_i32_e32 v5, 31, v4
	v_lshlrev_b64 v[8:9], 2, v[4:5]
	s_cmp_lg_u64 s[12:13], 0
	v_mov_b32_e32 v5, s9
	v_add_co_u32_e32 v6, vcc, s8, v8
	v_addc_co_u32_e32 v7, vcc, v5, v9, vcc
	s_cselect_b64 s[0:1], -1, 0
	v_mov_b32_e32 v5, s13
	v_add_co_u32_e32 v8, vcc, s12, v8
	v_cndmask_b32_e64 v13, 0, 1, s[0:1]
	s_mov_b64 s[4:5], 0
	v_addc_co_u32_e32 v9, vcc, v5, v9, vcc
	v_mov_b32_e32 v5, 0
	v_cmp_ne_u32_e64 s[0:1], 1, v13
	s_branch .LBB84_14
.LBB84_12:                              ;   in Loop: Header=BB84_14 Depth=1
	global_load_dword v13, v[8:9], off
	s_waitcnt vmcnt(0)
	v_cvt_f32_i32_e32 v13, v13
	v_div_scale_f32 v15, s[6:7], v13, v13, 1.0
	v_rcp_f32_e32 v16, v15
	v_div_scale_f32 v17, vcc, 1.0, v13, 1.0
	v_fma_f32 v18, -v15, v16, 1.0
	v_fmac_f32_e32 v16, v18, v16
	v_mul_f32_e32 v18, v17, v16
	v_fma_f32 v19, -v15, v18, v17
	v_fmac_f32_e32 v18, v19, v16
	v_fma_f32 v15, -v15, v18, v17
	v_div_fmas_f32 v15, v15, v16, v18
	v_div_fixup_f32 v13, v15, v13, 1.0
.LBB84_13:                              ;   in Loop: Header=BB84_14 Depth=1
	s_waitcnt vmcnt(0)
	v_ashrrev_i32_e32 v15, 31, v14
	v_mul_lo_u32 v16, v14, s17
	v_mul_lo_u32 v17, v15, s16
	v_mad_u64_u32 v[14:15], s[6:7], v14, s16, 0
	v_add3_u32 v15, v15, v16, v17
	v_lshlrev_b64 v[14:15], 2, v[14:15]
	v_add_co_u32_e32 v14, vcc, v11, v14
	v_addc_co_u32_e32 v15, vcc, v12, v15, vcc
	global_load_dword v14, v[14:15], off
	v_add_co_u32_e32 v6, vcc, 4, v6
	v_add_u32_e32 v4, 1, v4
	v_addc_co_u32_e32 v7, vcc, 0, v7, vcc
	v_cmp_ge_i32_e32 vcc, v4, v10
	s_or_b64 s[4:5], vcc, s[4:5]
	v_add_co_u32_e32 v8, vcc, 4, v8
	v_addc_co_u32_e32 v9, vcc, 0, v9, vcc
	s_waitcnt vmcnt(0)
	v_fmac_f32_e32 v5, v13, v14
	s_andn2_b64 exec, exec, s[4:5]
	s_cbranch_execz .LBB84_16
.LBB84_14:                              ; =>This Inner Loop Header: Depth=1
	global_load_dword v14, v[6:7], off
	s_and_b64 vcc, exec, s[0:1]
	s_cbranch_vccz .LBB84_12
; %bb.15:                               ;   in Loop: Header=BB84_14 Depth=1
	v_mov_b32_e32 v13, 1.0
	s_branch .LBB84_13
.LBB84_16:
	s_or_b64 exec, exec, s[4:5]
.LBB84_17:
	s_or_b64 exec, exec, s[2:3]
	s_waitcnt lgkmcnt(0)
	v_mov_b32_e32 v4, s25
	v_add_co_u32_e32 v0, vcc, s24, v0
	v_addc_co_u32_e32 v1, vcc, v4, v1, vcc
	global_load_dword v0, v[0:1], off
	v_mov_b32_e32 v4, s27
	s_waitcnt vmcnt(0)
	v_ashrrev_i32_e32 v1, 31, v0
	v_lshlrev_b64 v[0:1], 2, v[0:1]
	v_add_co_u32_e32 v0, vcc, s26, v0
	v_addc_co_u32_e32 v1, vcc, v4, v1, vcc
	global_load_dword v0, v[0:1], off
	v_mov_b32_e32 v4, s23
	s_waitcnt vmcnt(0)
	v_ashrrev_i32_e32 v1, 31, v0
	v_lshlrev_b64 v[0:1], 2, v[0:1]
	v_add_co_u32_e32 v0, vcc, s22, v0
	v_addc_co_u32_e32 v1, vcc, v4, v1, vcc
	global_load_dword v0, v[0:1], off
	s_waitcnt vmcnt(0)
	v_ashrrev_i32_e32 v1, 31, v0
	v_cmp_ne_u64_e32 vcc, s[30:31], v[0:1]
	s_and_b64 exec, exec, vcc
	s_cbranch_execz .LBB84_19
; %bb.18:
	v_mul_lo_u32 v4, v1, s16
	v_mul_lo_u32 v6, v0, s17
	v_mad_u64_u32 v[0:1], s[0:1], v0, s16, 0
	v_add3_u32 v1, v1, v6, v4
	v_lshlrev_b64 v[0:1], 2, v[0:1]
	v_mov_b32_e32 v4, s29
	v_add_co_u32_e32 v0, vcc, s28, v0
	v_addc_co_u32_e32 v1, vcc, v4, v1, vcc
	v_add_co_u32_e32 v0, vcc, v0, v2
	v_addc_co_u32_e32 v1, vcc, v1, v3, vcc
	global_atomic_add_f32 v[0:1], v5, off
.LBB84_19:
	s_endpgm
	.section	.rodata,"a",@progbits
	.p2align	6, 0x0
	.amdhsa_kernel _ZN2at6native12_GLOBAL__N_137compute_grad_weight_atomic_accumulateIffiEEvPKT1_PKT_S5_llS5_PKlS5_S5_S5_PT0_ll
		.amdhsa_group_segment_fixed_size 0
		.amdhsa_private_segment_fixed_size 0
		.amdhsa_kernarg_size 360
		.amdhsa_user_sgpr_count 6
		.amdhsa_user_sgpr_private_segment_buffer 1
		.amdhsa_user_sgpr_dispatch_ptr 0
		.amdhsa_user_sgpr_queue_ptr 0
		.amdhsa_user_sgpr_kernarg_segment_ptr 1
		.amdhsa_user_sgpr_dispatch_id 0
		.amdhsa_user_sgpr_flat_scratch_init 0
		.amdhsa_user_sgpr_kernarg_preload_length 0
		.amdhsa_user_sgpr_kernarg_preload_offset 0
		.amdhsa_user_sgpr_private_segment_size 0
		.amdhsa_uses_dynamic_stack 0
		.amdhsa_system_sgpr_private_segment_wavefront_offset 0
		.amdhsa_system_sgpr_workgroup_id_x 1
		.amdhsa_system_sgpr_workgroup_id_y 0
		.amdhsa_system_sgpr_workgroup_id_z 0
		.amdhsa_system_sgpr_workgroup_info 0
		.amdhsa_system_vgpr_workitem_id 0
		.amdhsa_next_free_vgpr 20
		.amdhsa_next_free_sgpr 32
		.amdhsa_accum_offset 20
		.amdhsa_reserve_vcc 1
		.amdhsa_reserve_flat_scratch 0
		.amdhsa_float_round_mode_32 0
		.amdhsa_float_round_mode_16_64 0
		.amdhsa_float_denorm_mode_32 3
		.amdhsa_float_denorm_mode_16_64 3
		.amdhsa_dx10_clamp 1
		.amdhsa_ieee_mode 1
		.amdhsa_fp16_overflow 0
		.amdhsa_tg_split 0
		.amdhsa_exception_fp_ieee_invalid_op 0
		.amdhsa_exception_fp_denorm_src 0
		.amdhsa_exception_fp_ieee_div_zero 0
		.amdhsa_exception_fp_ieee_overflow 0
		.amdhsa_exception_fp_ieee_underflow 0
		.amdhsa_exception_fp_ieee_inexact 0
		.amdhsa_exception_int_div_zero 0
	.end_amdhsa_kernel
	.section	.text._ZN2at6native12_GLOBAL__N_137compute_grad_weight_atomic_accumulateIffiEEvPKT1_PKT_S5_llS5_PKlS5_S5_S5_PT0_ll,"axG",@progbits,_ZN2at6native12_GLOBAL__N_137compute_grad_weight_atomic_accumulateIffiEEvPKT1_PKT_S5_llS5_PKlS5_S5_S5_PT0_ll,comdat
.Lfunc_end84:
	.size	_ZN2at6native12_GLOBAL__N_137compute_grad_weight_atomic_accumulateIffiEEvPKT1_PKT_S5_llS5_PKlS5_S5_S5_PT0_ll, .Lfunc_end84-_ZN2at6native12_GLOBAL__N_137compute_grad_weight_atomic_accumulateIffiEEvPKT1_PKT_S5_llS5_PKlS5_S5_S5_PT0_ll
                                        ; -- End function
	.section	.AMDGPU.csdata,"",@progbits
; Kernel info:
; codeLenInByte = 1612
; NumSgprs: 36
; NumVgprs: 20
; NumAgprs: 0
; TotalNumVgprs: 20
; ScratchSize: 0
; MemoryBound: 0
; FloatMode: 240
; IeeeMode: 1
; LDSByteSize: 0 bytes/workgroup (compile time only)
; SGPRBlocks: 4
; VGPRBlocks: 2
; NumSGPRsForWavesPerEU: 36
; NumVGPRsForWavesPerEU: 20
; AccumOffset: 20
; Occupancy: 8
; WaveLimiterHint : 1
; COMPUTE_PGM_RSRC2:SCRATCH_EN: 0
; COMPUTE_PGM_RSRC2:USER_SGPR: 6
; COMPUTE_PGM_RSRC2:TRAP_HANDLER: 0
; COMPUTE_PGM_RSRC2:TGID_X_EN: 1
; COMPUTE_PGM_RSRC2:TGID_Y_EN: 0
; COMPUTE_PGM_RSRC2:TGID_Z_EN: 0
; COMPUTE_PGM_RSRC2:TIDIG_COMP_CNT: 0
; COMPUTE_PGM_RSRC3_GFX90A:ACCUM_OFFSET: 4
; COMPUTE_PGM_RSRC3_GFX90A:TG_SPLIT: 0
	.section	.text._ZN2at6native12_GLOBAL__N_124compute_grad_weight_bagsIfiEEvPKT0_PKT_S5_S5_lliS5_S8_lS5_PKlPNS_14AccumulateTypeIS6_Lb1EE4typeEl,"axG",@progbits,_ZN2at6native12_GLOBAL__N_124compute_grad_weight_bagsIfiEEvPKT0_PKT_S5_S5_lliS5_S8_lS5_PKlPNS_14AccumulateTypeIS6_Lb1EE4typeEl,comdat
	.globl	_ZN2at6native12_GLOBAL__N_124compute_grad_weight_bagsIfiEEvPKT0_PKT_S5_S5_lliS5_S8_lS5_PKlPNS_14AccumulateTypeIS6_Lb1EE4typeEl ; -- Begin function _ZN2at6native12_GLOBAL__N_124compute_grad_weight_bagsIfiEEvPKT0_PKT_S5_S5_lliS5_S8_lS5_PKlPNS_14AccumulateTypeIS6_Lb1EE4typeEl
	.p2align	8
	.type	_ZN2at6native12_GLOBAL__N_124compute_grad_weight_bagsIfiEEvPKT0_PKT_S5_S5_lliS5_S8_lS5_PKlPNS_14AccumulateTypeIS6_Lb1EE4typeEl,@function
_ZN2at6native12_GLOBAL__N_124compute_grad_weight_bagsIfiEEvPKT0_PKT_S5_S5_lliS5_S8_lS5_PKlPNS_14AccumulateTypeIS6_Lb1EE4typeEl: ; @_ZN2at6native12_GLOBAL__N_124compute_grad_weight_bagsIfiEEvPKT0_PKT_S5_S5_lliS5_S8_lS5_PKlPNS_14AccumulateTypeIS6_Lb1EE4typeEl
; %bb.0:
	s_load_dword s0, s[4:5], 0x7c
	s_load_dwordx4 s[24:27], s[4:5], 0x58
	s_load_dwordx2 s[2:3], s[4:5], 0x68
	v_mov_b32_e32 v1, 0
	v_mov_b32_e32 v2, s6
	s_waitcnt lgkmcnt(0)
	s_and_b32 s0, s0, 0xffff
	v_mad_u64_u32 v[2:3], s[0:1], s0, v2, v[0:1]
	v_or_b32_e32 v5, s3, v3
	v_mov_b32_e32 v4, v1
	v_cmp_ne_u64_e32 vcc, 0, v[4:5]
                                        ; implicit-def: $vgpr0_vgpr1
	s_and_saveexec_b64 s[0:1], vcc
	s_xor_b64 s[6:7], exec, s[0:1]
	s_cbranch_execz .LBB85_2
; %bb.1:
	s_ashr_i32 s8, s3, 31
	s_add_u32 s0, s2, s8
	s_mov_b32 s9, s8
	s_addc_u32 s1, s3, s8
	s_xor_b64 s[10:11], s[0:1], s[8:9]
	v_cvt_f32_u32_e32 v0, s10
	v_cvt_f32_u32_e32 v1, s11
	s_sub_u32 s0, 0, s10
	s_subb_u32 s1, 0, s11
	v_madmk_f32 v0, v1, 0x4f800000, v0
	v_rcp_f32_e32 v0, v0
	v_mul_f32_e32 v0, 0x5f7ffffc, v0
	v_mul_f32_e32 v1, 0x2f800000, v0
	v_trunc_f32_e32 v1, v1
	v_madmk_f32 v0, v1, 0xcf800000, v0
	v_cvt_u32_f32_e32 v1, v1
	v_cvt_u32_f32_e32 v0, v0
	v_mul_lo_u32 v4, s0, v1
	v_mul_hi_u32 v6, s0, v0
	v_mul_lo_u32 v5, s1, v0
	v_add_u32_e32 v4, v6, v4
	v_mul_lo_u32 v7, s0, v0
	v_add_u32_e32 v4, v4, v5
	v_mul_lo_u32 v6, v0, v4
	v_mul_hi_u32 v8, v0, v7
	v_mul_hi_u32 v5, v0, v4
	v_add_co_u32_e32 v6, vcc, v8, v6
	v_addc_co_u32_e32 v5, vcc, 0, v5, vcc
	v_mul_hi_u32 v9, v1, v7
	v_mul_lo_u32 v7, v1, v7
	v_add_co_u32_e32 v6, vcc, v6, v7
	v_mul_hi_u32 v8, v1, v4
	v_addc_co_u32_e32 v5, vcc, v5, v9, vcc
	v_addc_co_u32_e32 v6, vcc, 0, v8, vcc
	v_mul_lo_u32 v4, v1, v4
	v_add_co_u32_e32 v4, vcc, v5, v4
	v_addc_co_u32_e32 v5, vcc, 0, v6, vcc
	v_add_co_u32_e32 v0, vcc, v0, v4
	v_addc_co_u32_e32 v1, vcc, v1, v5, vcc
	v_mul_lo_u32 v4, s0, v1
	v_mul_hi_u32 v5, s0, v0
	v_add_u32_e32 v4, v5, v4
	v_mul_lo_u32 v5, s1, v0
	v_add_u32_e32 v4, v4, v5
	v_mul_lo_u32 v6, s0, v0
	v_mul_hi_u32 v7, v1, v6
	v_mul_lo_u32 v8, v1, v6
	v_mul_lo_u32 v10, v0, v4
	v_mul_hi_u32 v6, v0, v6
	v_mul_hi_u32 v9, v0, v4
	v_add_co_u32_e32 v6, vcc, v6, v10
	v_addc_co_u32_e32 v9, vcc, 0, v9, vcc
	v_add_co_u32_e32 v6, vcc, v6, v8
	v_mul_hi_u32 v5, v1, v4
	v_addc_co_u32_e32 v6, vcc, v9, v7, vcc
	v_addc_co_u32_e32 v5, vcc, 0, v5, vcc
	v_mul_lo_u32 v4, v1, v4
	v_add_co_u32_e32 v4, vcc, v6, v4
	v_addc_co_u32_e32 v5, vcc, 0, v5, vcc
	v_add_co_u32_e32 v4, vcc, v0, v4
	v_addc_co_u32_e32 v5, vcc, v1, v5, vcc
	v_ashrrev_i32_e32 v6, 31, v3
	v_add_co_u32_e32 v0, vcc, v2, v6
	v_addc_co_u32_e32 v1, vcc, v3, v6, vcc
	v_xor_b32_e32 v8, v0, v6
	v_xor_b32_e32 v7, v1, v6
	v_mad_u64_u32 v[0:1], s[0:1], v8, v5, 0
	v_mul_hi_u32 v9, v8, v4
	v_add_co_u32_e32 v9, vcc, v9, v0
	v_addc_co_u32_e32 v10, vcc, 0, v1, vcc
	v_mad_u64_u32 v[0:1], s[0:1], v7, v5, 0
	v_mad_u64_u32 v[4:5], s[0:1], v7, v4, 0
	v_add_co_u32_e32 v4, vcc, v9, v4
	v_addc_co_u32_e32 v4, vcc, v10, v5, vcc
	v_addc_co_u32_e32 v1, vcc, 0, v1, vcc
	v_add_co_u32_e32 v4, vcc, v4, v0
	v_addc_co_u32_e32 v5, vcc, 0, v1, vcc
	v_mul_lo_u32 v9, s11, v4
	v_mul_lo_u32 v10, s10, v5
	v_mad_u64_u32 v[0:1], s[0:1], s10, v4, 0
	v_add3_u32 v1, v1, v10, v9
	v_sub_u32_e32 v9, v7, v1
	v_mov_b32_e32 v10, s11
	v_sub_co_u32_e32 v0, vcc, v8, v0
	v_subb_co_u32_e64 v8, s[0:1], v9, v10, vcc
	v_subrev_co_u32_e64 v9, s[0:1], s10, v0
	v_subbrev_co_u32_e64 v8, s[0:1], 0, v8, s[0:1]
	v_cmp_le_u32_e64 s[0:1], s11, v8
	v_cndmask_b32_e64 v10, 0, -1, s[0:1]
	v_cmp_le_u32_e64 s[0:1], s10, v9
	v_cndmask_b32_e64 v9, 0, -1, s[0:1]
	v_cmp_eq_u32_e64 s[0:1], s11, v8
	v_cndmask_b32_e64 v8, v10, v9, s[0:1]
	v_add_co_u32_e64 v9, s[0:1], 2, v4
	v_subb_co_u32_e32 v1, vcc, v7, v1, vcc
	v_addc_co_u32_e64 v10, s[0:1], 0, v5, s[0:1]
	v_cmp_le_u32_e32 vcc, s11, v1
	v_add_co_u32_e64 v11, s[0:1], 1, v4
	v_cndmask_b32_e64 v7, 0, -1, vcc
	v_cmp_le_u32_e32 vcc, s10, v0
	v_addc_co_u32_e64 v12, s[0:1], 0, v5, s[0:1]
	v_cndmask_b32_e64 v0, 0, -1, vcc
	v_cmp_eq_u32_e32 vcc, s11, v1
	v_cmp_ne_u32_e64 s[0:1], 0, v8
	v_cndmask_b32_e32 v0, v7, v0, vcc
	v_cndmask_b32_e64 v8, v12, v10, s[0:1]
	v_cmp_ne_u32_e32 vcc, 0, v0
	v_cndmask_b32_e64 v1, v11, v9, s[0:1]
	v_cndmask_b32_e32 v0, v5, v8, vcc
	v_cndmask_b32_e32 v1, v4, v1, vcc
	v_xor_b32_e32 v4, s8, v6
	v_xor_b32_e32 v5, v0, v4
	;; [unrolled: 1-line block ×3, first 2 shown]
	v_sub_co_u32_e32 v0, vcc, v0, v4
	v_subb_co_u32_e32 v1, vcc, v5, v4, vcc
.LBB85_2:
	s_or_saveexec_b64 s[0:1], s[6:7]
	s_load_dwordx2 s[6:7], s[24:25], 0x0
	s_xor_b64 exec, exec, s[0:1]
	s_cbranch_execz .LBB85_4
; %bb.3:
	v_cvt_f32_u32_e32 v0, s2
	s_sub_i32 s8, 0, s2
	v_rcp_iflag_f32_e32 v0, v0
	v_mul_f32_e32 v0, 0x4f7ffffe, v0
	v_cvt_u32_f32_e32 v0, v0
	v_mul_lo_u32 v1, s8, v0
	v_mul_hi_u32 v1, v0, v1
	v_add_u32_e32 v0, v0, v1
	v_mul_hi_u32 v0, v2, v0
	v_mul_lo_u32 v1, v0, s2
	v_sub_u32_e32 v1, v2, v1
	v_add_u32_e32 v4, 1, v0
	v_subrev_u32_e32 v5, s2, v1
	v_cmp_le_u32_e32 vcc, s2, v1
	v_cndmask_b32_e32 v1, v1, v5, vcc
	v_cndmask_b32_e32 v0, v0, v4, vcc
	v_add_u32_e32 v4, 1, v0
	v_cmp_le_u32_e32 vcc, s2, v1
	v_cndmask_b32_e32 v0, v0, v4, vcc
	v_mov_b32_e32 v1, 0
.LBB85_4:
	s_or_b64 exec, exec, s[0:1]
	s_load_dwordx4 s[28:31], s[4:5], 0x20
	v_mul_lo_u32 v6, v1, s2
	v_mul_lo_u32 v7, v0, s3
	v_mad_u64_u32 v[4:5], s[0:1], v0, s2, 0
	v_add3_u32 v5, v5, v7, v6
	v_sub_co_u32_e32 v4, vcc, v2, v4
	v_subb_co_u32_e32 v5, vcc, v3, v5, vcc
	s_waitcnt lgkmcnt(0)
	v_cmp_gt_i64_e32 vcc, s[30:31], v[4:5]
	v_cmp_gt_i64_e64 s[0:1], s[6:7], v[0:1]
	s_and_b64 s[0:1], vcc, s[0:1]
	s_and_saveexec_b64 s[2:3], s[0:1]
	s_cbranch_execz .LBB85_20
; %bb.5:
	s_load_dwordx8 s[8:15], s[4:5], 0x38
	v_lshlrev_b64 v[2:3], 2, v[0:1]
	s_load_dwordx8 s[16:23], s[4:5], 0x0
	s_add_u32 s0, s6, -1
	s_addc_u32 s1, s7, -1
	s_waitcnt lgkmcnt(0)
	v_mov_b32_e32 v7, s15
	v_add_co_u32_e32 v6, vcc, s14, v2
	v_addc_co_u32_e32 v7, vcc, v7, v3, vcc
	global_load_dword v2, v[6:7], off
	v_cmp_ne_u64_e32 vcc, s[0:1], v[0:1]
                                        ; implicit-def: $vgpr16
	s_and_saveexec_b64 s[0:1], vcc
	s_xor_b64 s[0:1], exec, s[0:1]
	s_cbranch_execz .LBB85_7
; %bb.6:
	global_load_dword v16, v[6:7], off offset:4
.LBB85_7:
	s_andn2_saveexec_b64 s[0:1], s[0:1]
	s_cbranch_execz .LBB85_9
; %bb.8:
	s_waitcnt vmcnt(0)
	v_mov_b32_e32 v16, s28
.LBB85_9:
	s_or_b64 exec, exec, s[0:1]
	s_waitcnt vmcnt(0)
	v_cmp_lt_i32_e32 vcc, v2, v16
	v_mov_b32_e32 v3, 0
	v_lshlrev_b64 v[4:5], 2, v[4:5]
	s_and_saveexec_b64 s[6:7], vcc
	s_cbranch_execz .LBB85_19
; %bb.10:
	s_load_dword s4, s[4:5], 0x30
	v_mov_b32_e32 v3, s19
	v_add_co_u32_e32 v17, vcc, s18, v4
	s_cmp_lg_u64 s[22:23], 0
	v_addc_co_u32_e32 v18, vcc, v3, v5, vcc
	v_ashrrev_i32_e32 v3, 31, v2
	s_cselect_b64 s[0:1], -1, 0
	s_cmp_lg_u64 s[10:11], 0
	v_lshlrev_b64 v[8:9], 2, v[2:3]
	s_cselect_b64 s[2:3], -1, 0
	s_waitcnt lgkmcnt(0)
	s_cmp_lg_u32 s4, 0
	v_mov_b32_e32 v3, s17
	v_add_co_u32_e32 v6, vcc, s16, v8
	v_cndmask_b32_e64 v10, 0, 1, s[0:1]
	v_addc_co_u32_e32 v7, vcc, v3, v9, vcc
	v_cmp_ne_u32_e64 s[0:1], 1, v10
	v_cndmask_b32_e64 v10, 0, 1, s[2:3]
	s_cselect_b64 s[4:5], -1, 0
	v_mov_b32_e32 v3, s23
	v_add_co_u32_e32 v8, vcc, s22, v8
	v_cmp_ne_u32_e64 s[2:3], 1, v10
	v_cndmask_b32_e64 v10, 0, 1, s[4:5]
	s_mov_b64 s[14:15], 0
	v_addc_co_u32_e32 v9, vcc, v3, v9, vcc
	v_mov_b32_e32 v3, 0
	v_mov_b32_e32 v19, s21
	v_cmp_ne_u32_e64 s[4:5], 1, v10
	s_branch .LBB85_12
.LBB85_11:                              ;   in Loop: Header=BB85_12 Depth=1
	v_add_co_u32_e32 v6, vcc, 4, v6
	v_add_u32_e32 v2, 1, v2
	v_addc_co_u32_e32 v7, vcc, 0, v7, vcc
	v_cmp_ge_i32_e32 vcc, v2, v16
	s_or_b64 s[14:15], vcc, s[14:15]
	v_add_co_u32_e32 v8, vcc, 4, v8
	s_waitcnt vmcnt(0)
	v_fmac_f32_e32 v3, v14, v12
	v_addc_co_u32_e32 v9, vcc, 0, v9, vcc
	s_andn2_b64 exec, exec, s[14:15]
	s_cbranch_execz .LBB85_18
.LBB85_12:                              ; =>This Inner Loop Header: Depth=1
	global_load_dword v12, v[6:7], off
	s_waitcnt vmcnt(0)
	v_ashrrev_i32_e32 v13, 31, v12
	v_lshlrev_b64 v[10:11], 2, v[12:13]
	v_add_co_u32_e32 v10, vcc, s20, v10
	v_addc_co_u32_e32 v11, vcc, v19, v11, vcc
	global_load_dword v10, v[10:11], off
	s_and_b64 vcc, exec, s[0:1]
	s_cbranch_vccnz .LBB85_17
; %bb.13:                               ;   in Loop: Header=BB85_12 Depth=1
	global_load_dword v11, v[8:9], off
	s_waitcnt vmcnt(0)
	v_cvt_f64_i32_e32 v[14:15], v11
	v_div_scale_f64 v[20:21], s[16:17], v[14:15], v[14:15], 1.0
	v_rcp_f64_e32 v[22:23], v[20:21]
	v_div_scale_f64 v[24:25], vcc, 1.0, v[14:15], 1.0
	v_fma_f64 v[26:27], -v[20:21], v[22:23], 1.0
	v_fmac_f64_e32 v[22:23], v[22:23], v[26:27]
	v_fma_f64 v[26:27], -v[20:21], v[22:23], 1.0
	v_fmac_f64_e32 v[22:23], v[22:23], v[26:27]
	v_mul_f64 v[26:27], v[24:25], v[22:23]
	v_fma_f64 v[20:21], -v[20:21], v[26:27], v[24:25]
	v_div_fmas_f64 v[20:21], v[20:21], v[22:23], v[26:27]
	v_div_fixup_f64 v[14:15], v[20:21], v[14:15], 1.0
	s_and_b64 vcc, exec, s[2:3]
	v_cvt_f32_f64_e32 v14, v[14:15]
	s_cbranch_vccnz .LBB85_15
.LBB85_14:                              ;   in Loop: Header=BB85_12 Depth=1
	v_mul_lo_u32 v11, v13, s12
	v_mul_lo_u32 v15, v12, s13
	v_mad_u64_u32 v[12:13], s[16:17], v12, s12, 0
	v_add3_u32 v13, v13, v15, v11
	v_lshlrev_b64 v[12:13], 2, v[12:13]
	v_mov_b32_e32 v11, s11
	v_add_co_u32_e32 v12, vcc, s10, v12
	v_addc_co_u32_e32 v13, vcc, v11, v13, vcc
	global_load_dword v11, v[12:13], off
	s_waitcnt vmcnt(0)
	v_mul_f32_e32 v14, v11, v14
.LBB85_15:                              ;   in Loop: Header=BB85_12 Depth=1
	s_waitcnt vmcnt(0)
	v_mul_lo_u32 v12, v10, s30
	v_ashrrev_i32_e32 v13, 31, v12
	v_lshlrev_b64 v[12:13], 2, v[12:13]
	v_add_co_u32_e32 v12, vcc, v17, v12
	v_addc_co_u32_e32 v13, vcc, v18, v13, vcc
	global_load_dword v12, v[12:13], off
	s_and_b64 vcc, exec, s[4:5]
	s_cbranch_vccnz .LBB85_11
; %bb.16:                               ;   in Loop: Header=BB85_12 Depth=1
	v_ashrrev_i32_e32 v11, 31, v10
	v_lshlrev_b64 v[10:11], 2, v[10:11]
	v_mov_b32_e32 v13, s9
	v_add_co_u32_e32 v10, vcc, s8, v10
	v_addc_co_u32_e32 v11, vcc, v13, v11, vcc
	global_load_dword v10, v[10:11], off
	s_waitcnt vmcnt(0)
	v_cvt_f32_i32_e32 v10, v10
	v_div_scale_f32 v11, s[16:17], v10, v10, v12
	v_rcp_f32_e32 v13, v11
	v_div_scale_f32 v15, vcc, v12, v10, v12
	v_fma_f32 v20, -v11, v13, 1.0
	v_fmac_f32_e32 v13, v20, v13
	v_mul_f32_e32 v20, v15, v13
	v_fma_f32 v21, -v11, v20, v15
	v_fmac_f32_e32 v20, v21, v13
	v_fma_f32 v11, -v11, v20, v15
	v_div_fmas_f32 v11, v11, v13, v20
	v_div_fixup_f32 v12, v11, v10, v12
	s_branch .LBB85_11
.LBB85_17:                              ;   in Loop: Header=BB85_12 Depth=1
	v_mov_b32_e32 v14, 0
	v_mov_b32_e32 v15, 0x3ff00000
	s_and_b64 vcc, exec, s[2:3]
	v_cvt_f32_f64_e32 v14, v[14:15]
	s_cbranch_vccz .LBB85_14
	s_branch .LBB85_15
.LBB85_18:
	s_or_b64 exec, exec, s[14:15]
.LBB85_19:
	s_or_b64 exec, exec, s[6:7]
	v_mul_lo_u32 v2, v1, s30
	v_mul_lo_u32 v6, v0, s31
	v_mad_u64_u32 v[0:1], s[0:1], v0, s30, 0
	v_add3_u32 v1, v1, v6, v2
	v_lshlrev_b64 v[0:1], 2, v[0:1]
	v_mov_b32_e32 v2, s27
	v_add_co_u32_e32 v0, vcc, s26, v0
	v_addc_co_u32_e32 v1, vcc, v2, v1, vcc
	v_add_co_u32_e32 v0, vcc, v0, v4
	v_addc_co_u32_e32 v1, vcc, v1, v5, vcc
	global_store_dword v[0:1], v3, off
.LBB85_20:
	s_endpgm
	.section	.rodata,"a",@progbits
	.p2align	6, 0x0
	.amdhsa_kernel _ZN2at6native12_GLOBAL__N_124compute_grad_weight_bagsIfiEEvPKT0_PKT_S5_S5_lliS5_S8_lS5_PKlPNS_14AccumulateTypeIS6_Lb1EE4typeEl
		.amdhsa_group_segment_fixed_size 0
		.amdhsa_private_segment_fixed_size 0
		.amdhsa_kernarg_size 368
		.amdhsa_user_sgpr_count 6
		.amdhsa_user_sgpr_private_segment_buffer 1
		.amdhsa_user_sgpr_dispatch_ptr 0
		.amdhsa_user_sgpr_queue_ptr 0
		.amdhsa_user_sgpr_kernarg_segment_ptr 1
		.amdhsa_user_sgpr_dispatch_id 0
		.amdhsa_user_sgpr_flat_scratch_init 0
		.amdhsa_user_sgpr_kernarg_preload_length 0
		.amdhsa_user_sgpr_kernarg_preload_offset 0
		.amdhsa_user_sgpr_private_segment_size 0
		.amdhsa_uses_dynamic_stack 0
		.amdhsa_system_sgpr_private_segment_wavefront_offset 0
		.amdhsa_system_sgpr_workgroup_id_x 1
		.amdhsa_system_sgpr_workgroup_id_y 0
		.amdhsa_system_sgpr_workgroup_id_z 0
		.amdhsa_system_sgpr_workgroup_info 0
		.amdhsa_system_vgpr_workitem_id 0
		.amdhsa_next_free_vgpr 28
		.amdhsa_next_free_sgpr 32
		.amdhsa_accum_offset 28
		.amdhsa_reserve_vcc 1
		.amdhsa_reserve_flat_scratch 0
		.amdhsa_float_round_mode_32 0
		.amdhsa_float_round_mode_16_64 0
		.amdhsa_float_denorm_mode_32 3
		.amdhsa_float_denorm_mode_16_64 3
		.amdhsa_dx10_clamp 1
		.amdhsa_ieee_mode 1
		.amdhsa_fp16_overflow 0
		.amdhsa_tg_split 0
		.amdhsa_exception_fp_ieee_invalid_op 0
		.amdhsa_exception_fp_denorm_src 0
		.amdhsa_exception_fp_ieee_div_zero 0
		.amdhsa_exception_fp_ieee_overflow 0
		.amdhsa_exception_fp_ieee_underflow 0
		.amdhsa_exception_fp_ieee_inexact 0
		.amdhsa_exception_int_div_zero 0
	.end_amdhsa_kernel
	.section	.text._ZN2at6native12_GLOBAL__N_124compute_grad_weight_bagsIfiEEvPKT0_PKT_S5_S5_lliS5_S8_lS5_PKlPNS_14AccumulateTypeIS6_Lb1EE4typeEl,"axG",@progbits,_ZN2at6native12_GLOBAL__N_124compute_grad_weight_bagsIfiEEvPKT0_PKT_S5_S5_lliS5_S8_lS5_PKlPNS_14AccumulateTypeIS6_Lb1EE4typeEl,comdat
.Lfunc_end85:
	.size	_ZN2at6native12_GLOBAL__N_124compute_grad_weight_bagsIfiEEvPKT0_PKT_S5_S5_lliS5_S8_lS5_PKlPNS_14AccumulateTypeIS6_Lb1EE4typeEl, .Lfunc_end85-_ZN2at6native12_GLOBAL__N_124compute_grad_weight_bagsIfiEEvPKT0_PKT_S5_S5_lliS5_S8_lS5_PKlPNS_14AccumulateTypeIS6_Lb1EE4typeEl
                                        ; -- End function
	.section	.AMDGPU.csdata,"",@progbits
; Kernel info:
; codeLenInByte = 1764
; NumSgprs: 36
; NumVgprs: 28
; NumAgprs: 0
; TotalNumVgprs: 28
; ScratchSize: 0
; MemoryBound: 0
; FloatMode: 240
; IeeeMode: 1
; LDSByteSize: 0 bytes/workgroup (compile time only)
; SGPRBlocks: 4
; VGPRBlocks: 3
; NumSGPRsForWavesPerEU: 36
; NumVGPRsForWavesPerEU: 28
; AccumOffset: 28
; Occupancy: 8
; WaveLimiterHint : 1
; COMPUTE_PGM_RSRC2:SCRATCH_EN: 0
; COMPUTE_PGM_RSRC2:USER_SGPR: 6
; COMPUTE_PGM_RSRC2:TRAP_HANDLER: 0
; COMPUTE_PGM_RSRC2:TGID_X_EN: 1
; COMPUTE_PGM_RSRC2:TGID_Y_EN: 0
; COMPUTE_PGM_RSRC2:TGID_Z_EN: 0
; COMPUTE_PGM_RSRC2:TIDIG_COMP_CNT: 0
; COMPUTE_PGM_RSRC3_GFX90A:ACCUM_OFFSET: 6
; COMPUTE_PGM_RSRC3_GFX90A:TG_SPLIT: 0
	.section	.text._ZN2at6native12_GLOBAL__N_119compute_grad_weightIfiEEvPKT0_PKT_S5_llS5_PKlPNS_14AccumulateTypeIS6_Lb1EE4typeEl,"axG",@progbits,_ZN2at6native12_GLOBAL__N_119compute_grad_weightIfiEEvPKT0_PKT_S5_llS5_PKlPNS_14AccumulateTypeIS6_Lb1EE4typeEl,comdat
	.globl	_ZN2at6native12_GLOBAL__N_119compute_grad_weightIfiEEvPKT0_PKT_S5_llS5_PKlPNS_14AccumulateTypeIS6_Lb1EE4typeEl ; -- Begin function _ZN2at6native12_GLOBAL__N_119compute_grad_weightIfiEEvPKT0_PKT_S5_llS5_PKlPNS_14AccumulateTypeIS6_Lb1EE4typeEl
	.p2align	8
	.type	_ZN2at6native12_GLOBAL__N_119compute_grad_weightIfiEEvPKT0_PKT_S5_llS5_PKlPNS_14AccumulateTypeIS6_Lb1EE4typeEl,@function
_ZN2at6native12_GLOBAL__N_119compute_grad_weightIfiEEvPKT0_PKT_S5_llS5_PKlPNS_14AccumulateTypeIS6_Lb1EE4typeEl: ; @_ZN2at6native12_GLOBAL__N_119compute_grad_weightIfiEEvPKT0_PKT_S5_llS5_PKlPNS_14AccumulateTypeIS6_Lb1EE4typeEl
; %bb.0:
	s_load_dword s0, s[4:5], 0x54
	s_load_dwordx2 s[2:3], s[4:5], 0x40
	s_load_dwordx16 s[8:23], s[4:5], 0x0
	v_mov_b32_e32 v1, 0
	v_mov_b32_e32 v2, s6
	s_waitcnt lgkmcnt(0)
	s_and_b32 s0, s0, 0xffff
	v_mad_u64_u32 v[2:3], s[0:1], s0, v2, v[0:1]
	v_or_b32_e32 v5, s3, v3
	v_mov_b32_e32 v4, v1
	v_cmp_ne_u64_e32 vcc, 0, v[4:5]
                                        ; implicit-def: $vgpr0_vgpr1
	s_and_saveexec_b64 s[0:1], vcc
	s_xor_b64 s[4:5], exec, s[0:1]
	s_cbranch_execz .LBB86_2
; %bb.1:
	s_ashr_i32 s6, s3, 31
	s_add_u32 s0, s2, s6
	s_mov_b32 s7, s6
	s_addc_u32 s1, s3, s6
	s_xor_b64 s[24:25], s[0:1], s[6:7]
	v_cvt_f32_u32_e32 v0, s24
	v_cvt_f32_u32_e32 v1, s25
	s_sub_u32 s0, 0, s24
	s_subb_u32 s1, 0, s25
	v_madmk_f32 v0, v1, 0x4f800000, v0
	v_rcp_f32_e32 v0, v0
	v_mul_f32_e32 v0, 0x5f7ffffc, v0
	v_mul_f32_e32 v1, 0x2f800000, v0
	v_trunc_f32_e32 v1, v1
	v_madmk_f32 v0, v1, 0xcf800000, v0
	v_cvt_u32_f32_e32 v1, v1
	v_cvt_u32_f32_e32 v0, v0
	v_mul_lo_u32 v4, s0, v1
	v_mul_hi_u32 v6, s0, v0
	v_mul_lo_u32 v5, s1, v0
	v_add_u32_e32 v4, v6, v4
	v_mul_lo_u32 v7, s0, v0
	v_add_u32_e32 v4, v4, v5
	v_mul_lo_u32 v6, v0, v4
	v_mul_hi_u32 v8, v0, v7
	v_mul_hi_u32 v5, v0, v4
	v_add_co_u32_e32 v6, vcc, v8, v6
	v_addc_co_u32_e32 v5, vcc, 0, v5, vcc
	v_mul_hi_u32 v9, v1, v7
	v_mul_lo_u32 v7, v1, v7
	v_add_co_u32_e32 v6, vcc, v6, v7
	v_mul_hi_u32 v8, v1, v4
	v_addc_co_u32_e32 v5, vcc, v5, v9, vcc
	v_addc_co_u32_e32 v6, vcc, 0, v8, vcc
	v_mul_lo_u32 v4, v1, v4
	v_add_co_u32_e32 v4, vcc, v5, v4
	v_addc_co_u32_e32 v5, vcc, 0, v6, vcc
	v_add_co_u32_e32 v0, vcc, v0, v4
	v_addc_co_u32_e32 v1, vcc, v1, v5, vcc
	v_mul_lo_u32 v4, s0, v1
	v_mul_hi_u32 v5, s0, v0
	v_add_u32_e32 v4, v5, v4
	v_mul_lo_u32 v5, s1, v0
	v_add_u32_e32 v4, v4, v5
	v_mul_lo_u32 v6, s0, v0
	v_mul_hi_u32 v7, v1, v6
	v_mul_lo_u32 v8, v1, v6
	v_mul_lo_u32 v10, v0, v4
	v_mul_hi_u32 v6, v0, v6
	v_mul_hi_u32 v9, v0, v4
	v_add_co_u32_e32 v6, vcc, v6, v10
	v_addc_co_u32_e32 v9, vcc, 0, v9, vcc
	v_add_co_u32_e32 v6, vcc, v6, v8
	v_mul_hi_u32 v5, v1, v4
	v_addc_co_u32_e32 v6, vcc, v9, v7, vcc
	v_addc_co_u32_e32 v5, vcc, 0, v5, vcc
	v_mul_lo_u32 v4, v1, v4
	v_add_co_u32_e32 v4, vcc, v6, v4
	v_addc_co_u32_e32 v5, vcc, 0, v5, vcc
	v_add_co_u32_e32 v4, vcc, v0, v4
	v_addc_co_u32_e32 v5, vcc, v1, v5, vcc
	v_ashrrev_i32_e32 v6, 31, v3
	v_add_co_u32_e32 v0, vcc, v2, v6
	v_addc_co_u32_e32 v1, vcc, v3, v6, vcc
	v_xor_b32_e32 v8, v0, v6
	v_xor_b32_e32 v7, v1, v6
	v_mad_u64_u32 v[0:1], s[0:1], v8, v5, 0
	v_mul_hi_u32 v9, v8, v4
	v_add_co_u32_e32 v9, vcc, v9, v0
	v_addc_co_u32_e32 v10, vcc, 0, v1, vcc
	v_mad_u64_u32 v[0:1], s[0:1], v7, v5, 0
	v_mad_u64_u32 v[4:5], s[0:1], v7, v4, 0
	v_add_co_u32_e32 v4, vcc, v9, v4
	v_addc_co_u32_e32 v4, vcc, v10, v5, vcc
	v_addc_co_u32_e32 v1, vcc, 0, v1, vcc
	v_add_co_u32_e32 v4, vcc, v4, v0
	v_addc_co_u32_e32 v5, vcc, 0, v1, vcc
	v_mul_lo_u32 v9, s25, v4
	v_mul_lo_u32 v10, s24, v5
	v_mad_u64_u32 v[0:1], s[0:1], s24, v4, 0
	v_add3_u32 v1, v1, v10, v9
	v_sub_u32_e32 v9, v7, v1
	v_mov_b32_e32 v10, s25
	v_sub_co_u32_e32 v0, vcc, v8, v0
	v_subb_co_u32_e64 v8, s[0:1], v9, v10, vcc
	v_subrev_co_u32_e64 v9, s[0:1], s24, v0
	v_subbrev_co_u32_e64 v8, s[0:1], 0, v8, s[0:1]
	v_cmp_le_u32_e64 s[0:1], s25, v8
	v_cndmask_b32_e64 v10, 0, -1, s[0:1]
	v_cmp_le_u32_e64 s[0:1], s24, v9
	v_cndmask_b32_e64 v9, 0, -1, s[0:1]
	v_cmp_eq_u32_e64 s[0:1], s25, v8
	v_cndmask_b32_e64 v8, v10, v9, s[0:1]
	v_add_co_u32_e64 v9, s[0:1], 2, v4
	v_subb_co_u32_e32 v1, vcc, v7, v1, vcc
	v_addc_co_u32_e64 v10, s[0:1], 0, v5, s[0:1]
	v_cmp_le_u32_e32 vcc, s25, v1
	v_add_co_u32_e64 v11, s[0:1], 1, v4
	v_cndmask_b32_e64 v7, 0, -1, vcc
	v_cmp_le_u32_e32 vcc, s24, v0
	v_addc_co_u32_e64 v12, s[0:1], 0, v5, s[0:1]
	v_cndmask_b32_e64 v0, 0, -1, vcc
	v_cmp_eq_u32_e32 vcc, s25, v1
	v_cmp_ne_u32_e64 s[0:1], 0, v8
	v_cndmask_b32_e32 v0, v7, v0, vcc
	v_cndmask_b32_e64 v8, v12, v10, s[0:1]
	v_cmp_ne_u32_e32 vcc, 0, v0
	v_cndmask_b32_e64 v1, v11, v9, s[0:1]
	v_cndmask_b32_e32 v0, v5, v8, vcc
	v_cndmask_b32_e32 v1, v4, v1, vcc
	v_xor_b32_e32 v4, s6, v6
	v_xor_b32_e32 v5, v0, v4
	;; [unrolled: 1-line block ×3, first 2 shown]
	v_sub_co_u32_e32 v0, vcc, v0, v4
	v_subb_co_u32_e32 v1, vcc, v5, v4, vcc
.LBB86_2:
	s_or_saveexec_b64 s[0:1], s[4:5]
	s_load_dwordx2 s[4:5], s[20:21], 0x0
	s_xor_b64 exec, exec, s[0:1]
	s_cbranch_execz .LBB86_4
; %bb.3:
	v_cvt_f32_u32_e32 v0, s2
	s_sub_i32 s6, 0, s2
	v_rcp_iflag_f32_e32 v0, v0
	v_mul_f32_e32 v0, 0x4f7ffffe, v0
	v_cvt_u32_f32_e32 v0, v0
	v_mul_lo_u32 v1, s6, v0
	v_mul_hi_u32 v1, v0, v1
	v_add_u32_e32 v0, v0, v1
	v_mul_hi_u32 v0, v2, v0
	v_mul_lo_u32 v1, v0, s2
	v_sub_u32_e32 v1, v2, v1
	v_add_u32_e32 v4, 1, v0
	v_subrev_u32_e32 v5, s2, v1
	v_cmp_le_u32_e32 vcc, s2, v1
	v_cndmask_b32_e32 v1, v1, v5, vcc
	v_cndmask_b32_e32 v0, v0, v4, vcc
	v_add_u32_e32 v4, 1, v0
	v_cmp_le_u32_e32 vcc, s2, v1
	v_cndmask_b32_e32 v0, v0, v4, vcc
	v_mov_b32_e32 v1, 0
.LBB86_4:
	s_or_b64 exec, exec, s[0:1]
	v_mul_lo_u32 v6, v1, s2
	v_mul_lo_u32 v7, v0, s3
	v_mad_u64_u32 v[4:5], s[0:1], v0, s2, 0
	v_add3_u32 v5, v5, v7, v6
	v_sub_co_u32_e32 v4, vcc, v2, v4
	v_subb_co_u32_e32 v5, vcc, v3, v5, vcc
	v_cmp_gt_i64_e32 vcc, s[16:17], v[4:5]
	s_waitcnt lgkmcnt(0)
	v_cmp_gt_i64_e64 s[0:1], s[4:5], v[0:1]
	s_and_b64 s[0:1], vcc, s[0:1]
	s_and_saveexec_b64 s[2:3], s[0:1]
	s_cbranch_execz .LBB86_17
; %bb.5:
	v_lshlrev_b64 v[2:3], 2, v[0:1]
	v_mov_b32_e32 v7, s19
	v_add_co_u32_e32 v6, vcc, s18, v2
	v_addc_co_u32_e32 v7, vcc, v7, v3, vcc
	global_load_dword v2, v[6:7], off
	s_add_u32 s0, s4, -1
	s_addc_u32 s1, s5, -1
	v_cmp_ne_u64_e32 vcc, s[0:1], v[0:1]
                                        ; implicit-def: $vgpr10
	s_and_saveexec_b64 s[0:1], vcc
	s_xor_b64 s[0:1], exec, s[0:1]
	s_cbranch_execz .LBB86_7
; %bb.6:
	global_load_dword v10, v[6:7], off offset:4
.LBB86_7:
	s_andn2_saveexec_b64 s[0:1], s[0:1]
	s_cbranch_execz .LBB86_9
; %bb.8:
	s_waitcnt vmcnt(0)
	v_mov_b32_e32 v10, s14
.LBB86_9:
	s_or_b64 exec, exec, s[0:1]
	s_waitcnt vmcnt(0)
	v_cmp_lt_i32_e32 vcc, v2, v10
	v_mov_b32_e32 v3, 0
	v_lshlrev_b64 v[4:5], 2, v[4:5]
	s_and_saveexec_b64 s[2:3], vcc
	s_cbranch_execz .LBB86_16
; %bb.10:
	v_mov_b32_e32 v3, s11
	v_add_co_u32_e32 v11, vcc, s10, v4
	v_addc_co_u32_e32 v12, vcc, v3, v5, vcc
	v_ashrrev_i32_e32 v3, 31, v2
	v_lshlrev_b64 v[8:9], 2, v[2:3]
	s_cmp_lg_u64 s[12:13], 0
	v_mov_b32_e32 v3, s9
	v_add_co_u32_e32 v6, vcc, s8, v8
	v_addc_co_u32_e32 v7, vcc, v3, v9, vcc
	s_cselect_b64 s[0:1], -1, 0
	v_mov_b32_e32 v3, s13
	v_add_co_u32_e32 v8, vcc, s12, v8
	v_cndmask_b32_e64 v13, 0, 1, s[0:1]
	s_mov_b64 s[4:5], 0
	v_addc_co_u32_e32 v9, vcc, v3, v9, vcc
	v_mov_b32_e32 v3, 0
	v_cmp_ne_u32_e64 s[0:1], 1, v13
	s_branch .LBB86_13
.LBB86_11:                              ;   in Loop: Header=BB86_13 Depth=1
	global_load_dword v13, v[8:9], off
	s_waitcnt vmcnt(0)
	v_cvt_f32_i32_e32 v13, v13
	v_div_scale_f32 v15, s[6:7], v13, v13, 1.0
	v_rcp_f32_e32 v16, v15
	v_div_scale_f32 v17, vcc, 1.0, v13, 1.0
	v_fma_f32 v18, -v15, v16, 1.0
	v_fmac_f32_e32 v16, v18, v16
	v_mul_f32_e32 v18, v17, v16
	v_fma_f32 v19, -v15, v18, v17
	v_fmac_f32_e32 v18, v19, v16
	v_fma_f32 v15, -v15, v18, v17
	v_div_fmas_f32 v15, v15, v16, v18
	v_div_fixup_f32 v13, v15, v13, 1.0
.LBB86_12:                              ;   in Loop: Header=BB86_13 Depth=1
	s_waitcnt vmcnt(0)
	v_ashrrev_i32_e32 v15, 31, v14
	v_mul_lo_u32 v16, v14, s17
	v_mul_lo_u32 v17, v15, s16
	v_mad_u64_u32 v[14:15], s[6:7], v14, s16, 0
	v_add3_u32 v15, v15, v16, v17
	v_lshlrev_b64 v[14:15], 2, v[14:15]
	v_add_co_u32_e32 v14, vcc, v11, v14
	v_addc_co_u32_e32 v15, vcc, v12, v15, vcc
	global_load_dword v14, v[14:15], off
	v_add_co_u32_e32 v6, vcc, 4, v6
	v_add_u32_e32 v2, 1, v2
	v_addc_co_u32_e32 v7, vcc, 0, v7, vcc
	v_cmp_ge_i32_e32 vcc, v2, v10
	s_or_b64 s[4:5], vcc, s[4:5]
	v_add_co_u32_e32 v8, vcc, 4, v8
	v_addc_co_u32_e32 v9, vcc, 0, v9, vcc
	s_waitcnt vmcnt(0)
	v_fmac_f32_e32 v3, v13, v14
	s_andn2_b64 exec, exec, s[4:5]
	s_cbranch_execz .LBB86_15
.LBB86_13:                              ; =>This Inner Loop Header: Depth=1
	global_load_dword v14, v[6:7], off
	s_and_b64 vcc, exec, s[0:1]
	s_cbranch_vccz .LBB86_11
; %bb.14:                               ;   in Loop: Header=BB86_13 Depth=1
	v_mov_b32_e32 v13, 1.0
	s_branch .LBB86_12
.LBB86_15:
	s_or_b64 exec, exec, s[4:5]
.LBB86_16:
	s_or_b64 exec, exec, s[2:3]
	v_mul_lo_u32 v2, v1, s16
	v_mul_lo_u32 v6, v0, s17
	v_mad_u64_u32 v[0:1], s[0:1], v0, s16, 0
	v_add3_u32 v1, v1, v6, v2
	v_lshlrev_b64 v[0:1], 2, v[0:1]
	v_mov_b32_e32 v2, s23
	v_add_co_u32_e32 v0, vcc, s22, v0
	v_addc_co_u32_e32 v1, vcc, v2, v1, vcc
	v_add_co_u32_e32 v0, vcc, v0, v4
	v_addc_co_u32_e32 v1, vcc, v1, v5, vcc
	global_store_dword v[0:1], v3, off
.LBB86_17:
	s_endpgm
	.section	.rodata,"a",@progbits
	.p2align	6, 0x0
	.amdhsa_kernel _ZN2at6native12_GLOBAL__N_119compute_grad_weightIfiEEvPKT0_PKT_S5_llS5_PKlPNS_14AccumulateTypeIS6_Lb1EE4typeEl
		.amdhsa_group_segment_fixed_size 0
		.amdhsa_private_segment_fixed_size 0
		.amdhsa_kernarg_size 328
		.amdhsa_user_sgpr_count 6
		.amdhsa_user_sgpr_private_segment_buffer 1
		.amdhsa_user_sgpr_dispatch_ptr 0
		.amdhsa_user_sgpr_queue_ptr 0
		.amdhsa_user_sgpr_kernarg_segment_ptr 1
		.amdhsa_user_sgpr_dispatch_id 0
		.amdhsa_user_sgpr_flat_scratch_init 0
		.amdhsa_user_sgpr_kernarg_preload_length 0
		.amdhsa_user_sgpr_kernarg_preload_offset 0
		.amdhsa_user_sgpr_private_segment_size 0
		.amdhsa_uses_dynamic_stack 0
		.amdhsa_system_sgpr_private_segment_wavefront_offset 0
		.amdhsa_system_sgpr_workgroup_id_x 1
		.amdhsa_system_sgpr_workgroup_id_y 0
		.amdhsa_system_sgpr_workgroup_id_z 0
		.amdhsa_system_sgpr_workgroup_info 0
		.amdhsa_system_vgpr_workitem_id 0
		.amdhsa_next_free_vgpr 20
		.amdhsa_next_free_sgpr 26
		.amdhsa_accum_offset 20
		.amdhsa_reserve_vcc 1
		.amdhsa_reserve_flat_scratch 0
		.amdhsa_float_round_mode_32 0
		.amdhsa_float_round_mode_16_64 0
		.amdhsa_float_denorm_mode_32 3
		.amdhsa_float_denorm_mode_16_64 3
		.amdhsa_dx10_clamp 1
		.amdhsa_ieee_mode 1
		.amdhsa_fp16_overflow 0
		.amdhsa_tg_split 0
		.amdhsa_exception_fp_ieee_invalid_op 0
		.amdhsa_exception_fp_denorm_src 0
		.amdhsa_exception_fp_ieee_div_zero 0
		.amdhsa_exception_fp_ieee_overflow 0
		.amdhsa_exception_fp_ieee_underflow 0
		.amdhsa_exception_fp_ieee_inexact 0
		.amdhsa_exception_int_div_zero 0
	.end_amdhsa_kernel
	.section	.text._ZN2at6native12_GLOBAL__N_119compute_grad_weightIfiEEvPKT0_PKT_S5_llS5_PKlPNS_14AccumulateTypeIS6_Lb1EE4typeEl,"axG",@progbits,_ZN2at6native12_GLOBAL__N_119compute_grad_weightIfiEEvPKT0_PKT_S5_llS5_PKlPNS_14AccumulateTypeIS6_Lb1EE4typeEl,comdat
.Lfunc_end86:
	.size	_ZN2at6native12_GLOBAL__N_119compute_grad_weightIfiEEvPKT0_PKT_S5_llS5_PKlPNS_14AccumulateTypeIS6_Lb1EE4typeEl, .Lfunc_end86-_ZN2at6native12_GLOBAL__N_119compute_grad_weightIfiEEvPKT0_PKT_S5_llS5_PKlPNS_14AccumulateTypeIS6_Lb1EE4typeEl
                                        ; -- End function
	.section	.AMDGPU.csdata,"",@progbits
; Kernel info:
; codeLenInByte = 1436
; NumSgprs: 30
; NumVgprs: 20
; NumAgprs: 0
; TotalNumVgprs: 20
; ScratchSize: 0
; MemoryBound: 0
; FloatMode: 240
; IeeeMode: 1
; LDSByteSize: 0 bytes/workgroup (compile time only)
; SGPRBlocks: 3
; VGPRBlocks: 2
; NumSGPRsForWavesPerEU: 30
; NumVGPRsForWavesPerEU: 20
; AccumOffset: 20
; Occupancy: 8
; WaveLimiterHint : 1
; COMPUTE_PGM_RSRC2:SCRATCH_EN: 0
; COMPUTE_PGM_RSRC2:USER_SGPR: 6
; COMPUTE_PGM_RSRC2:TRAP_HANDLER: 0
; COMPUTE_PGM_RSRC2:TGID_X_EN: 1
; COMPUTE_PGM_RSRC2:TGID_Y_EN: 0
; COMPUTE_PGM_RSRC2:TGID_Z_EN: 0
; COMPUTE_PGM_RSRC2:TIDIG_COMP_CNT: 0
; COMPUTE_PGM_RSRC3_GFX90A:ACCUM_OFFSET: 4
; COMPUTE_PGM_RSRC3_GFX90A:TG_SPLIT: 0
	.section	.text._ZN2at6native12_GLOBAL__N_115sum_and_scatterIfiEEvPKT0_PT_lS5_PKlPKNS_14AccumulateTypeIS6_Lb1EE4typeES5_S9_ll,"axG",@progbits,_ZN2at6native12_GLOBAL__N_115sum_and_scatterIfiEEvPKT0_PT_lS5_PKlPKNS_14AccumulateTypeIS6_Lb1EE4typeES5_S9_ll,comdat
	.globl	_ZN2at6native12_GLOBAL__N_115sum_and_scatterIfiEEvPKT0_PT_lS5_PKlPKNS_14AccumulateTypeIS6_Lb1EE4typeES5_S9_ll ; -- Begin function _ZN2at6native12_GLOBAL__N_115sum_and_scatterIfiEEvPKT0_PT_lS5_PKlPKNS_14AccumulateTypeIS6_Lb1EE4typeES5_S9_ll
	.p2align	8
	.type	_ZN2at6native12_GLOBAL__N_115sum_and_scatterIfiEEvPKT0_PT_lS5_PKlPKNS_14AccumulateTypeIS6_Lb1EE4typeES5_S9_ll,@function
_ZN2at6native12_GLOBAL__N_115sum_and_scatterIfiEEvPKT0_PT_lS5_PKlPKNS_14AccumulateTypeIS6_Lb1EE4typeES5_S9_ll: ; @_ZN2at6native12_GLOBAL__N_115sum_and_scatterIfiEEvPKT0_PT_lS5_PKlPKNS_14AccumulateTypeIS6_Lb1EE4typeES5_S9_ll
; %bb.0:
	s_load_dword s0, s[4:5], 0x5c
	s_load_dwordx4 s[24:27], s[4:5], 0x40
	s_load_dwordx16 s[8:23], s[4:5], 0x0
	v_mov_b32_e32 v1, 0
	v_mov_b32_e32 v2, s6
	s_waitcnt lgkmcnt(0)
	s_and_b32 s0, s0, 0xffff
	v_mad_u64_u32 v[2:3], s[0:1], s0, v2, v[0:1]
	v_or_b32_e32 v5, s27, v3
	v_mov_b32_e32 v4, v1
	v_cmp_ne_u64_e32 vcc, 0, v[4:5]
                                        ; implicit-def: $vgpr8_vgpr9
	s_and_saveexec_b64 s[0:1], vcc
	s_xor_b64 s[2:3], exec, s[0:1]
	s_cbranch_execz .LBB87_2
; %bb.1:
	s_ashr_i32 s4, s27, 31
	s_add_u32 s0, s26, s4
	s_mov_b32 s5, s4
	s_addc_u32 s1, s27, s4
	s_xor_b64 s[6:7], s[0:1], s[4:5]
	v_cvt_f32_u32_e32 v0, s6
	v_cvt_f32_u32_e32 v1, s7
	s_sub_u32 s0, 0, s6
	s_subb_u32 s1, 0, s7
	v_madmk_f32 v0, v1, 0x4f800000, v0
	v_rcp_f32_e32 v0, v0
	v_mul_f32_e32 v0, 0x5f7ffffc, v0
	v_mul_f32_e32 v1, 0x2f800000, v0
	v_trunc_f32_e32 v1, v1
	v_madmk_f32 v0, v1, 0xcf800000, v0
	v_cvt_u32_f32_e32 v1, v1
	v_cvt_u32_f32_e32 v0, v0
	v_mul_lo_u32 v4, s0, v1
	v_mul_hi_u32 v6, s0, v0
	v_mul_lo_u32 v5, s1, v0
	v_add_u32_e32 v4, v6, v4
	v_mul_lo_u32 v7, s0, v0
	v_add_u32_e32 v4, v4, v5
	v_mul_lo_u32 v6, v0, v4
	v_mul_hi_u32 v8, v0, v7
	v_mul_hi_u32 v5, v0, v4
	v_add_co_u32_e32 v6, vcc, v8, v6
	v_addc_co_u32_e32 v5, vcc, 0, v5, vcc
	v_mul_hi_u32 v9, v1, v7
	v_mul_lo_u32 v7, v1, v7
	v_add_co_u32_e32 v6, vcc, v6, v7
	v_mul_hi_u32 v8, v1, v4
	v_addc_co_u32_e32 v5, vcc, v5, v9, vcc
	v_addc_co_u32_e32 v6, vcc, 0, v8, vcc
	v_mul_lo_u32 v4, v1, v4
	v_add_co_u32_e32 v4, vcc, v5, v4
	v_addc_co_u32_e32 v5, vcc, 0, v6, vcc
	v_add_co_u32_e32 v0, vcc, v0, v4
	v_addc_co_u32_e32 v1, vcc, v1, v5, vcc
	v_mul_lo_u32 v4, s0, v1
	v_mul_hi_u32 v5, s0, v0
	v_add_u32_e32 v4, v5, v4
	v_mul_lo_u32 v5, s1, v0
	v_add_u32_e32 v4, v4, v5
	v_mul_lo_u32 v6, s0, v0
	v_mul_hi_u32 v7, v1, v6
	v_mul_lo_u32 v8, v1, v6
	v_mul_lo_u32 v10, v0, v4
	v_mul_hi_u32 v6, v0, v6
	v_mul_hi_u32 v9, v0, v4
	v_add_co_u32_e32 v6, vcc, v6, v10
	v_addc_co_u32_e32 v9, vcc, 0, v9, vcc
	v_add_co_u32_e32 v6, vcc, v6, v8
	v_mul_hi_u32 v5, v1, v4
	v_addc_co_u32_e32 v6, vcc, v9, v7, vcc
	v_addc_co_u32_e32 v5, vcc, 0, v5, vcc
	v_mul_lo_u32 v4, v1, v4
	v_add_co_u32_e32 v4, vcc, v6, v4
	v_addc_co_u32_e32 v5, vcc, 0, v5, vcc
	v_add_co_u32_e32 v4, vcc, v0, v4
	v_addc_co_u32_e32 v5, vcc, v1, v5, vcc
	v_ashrrev_i32_e32 v6, 31, v3
	v_add_co_u32_e32 v0, vcc, v2, v6
	v_addc_co_u32_e32 v1, vcc, v3, v6, vcc
	v_xor_b32_e32 v8, v0, v6
	v_xor_b32_e32 v7, v1, v6
	v_mad_u64_u32 v[0:1], s[0:1], v8, v5, 0
	v_mul_hi_u32 v9, v8, v4
	v_add_co_u32_e32 v9, vcc, v9, v0
	v_addc_co_u32_e32 v10, vcc, 0, v1, vcc
	v_mad_u64_u32 v[0:1], s[0:1], v7, v5, 0
	v_mad_u64_u32 v[4:5], s[0:1], v7, v4, 0
	v_add_co_u32_e32 v4, vcc, v9, v4
	v_addc_co_u32_e32 v4, vcc, v10, v5, vcc
	v_addc_co_u32_e32 v1, vcc, 0, v1, vcc
	v_add_co_u32_e32 v4, vcc, v4, v0
	v_addc_co_u32_e32 v5, vcc, 0, v1, vcc
	v_mul_lo_u32 v9, s7, v4
	v_mul_lo_u32 v10, s6, v5
	v_mad_u64_u32 v[0:1], s[0:1], s6, v4, 0
	v_add3_u32 v1, v1, v10, v9
	v_sub_u32_e32 v9, v7, v1
	v_mov_b32_e32 v10, s7
	v_sub_co_u32_e32 v0, vcc, v8, v0
	v_subb_co_u32_e64 v8, s[0:1], v9, v10, vcc
	v_subrev_co_u32_e64 v9, s[0:1], s6, v0
	v_subbrev_co_u32_e64 v8, s[0:1], 0, v8, s[0:1]
	v_cmp_le_u32_e64 s[0:1], s7, v8
	v_cndmask_b32_e64 v10, 0, -1, s[0:1]
	v_cmp_le_u32_e64 s[0:1], s6, v9
	v_cndmask_b32_e64 v9, 0, -1, s[0:1]
	v_cmp_eq_u32_e64 s[0:1], s7, v8
	v_cndmask_b32_e64 v8, v10, v9, s[0:1]
	v_add_co_u32_e64 v9, s[0:1], 2, v4
	v_subb_co_u32_e32 v1, vcc, v7, v1, vcc
	v_addc_co_u32_e64 v10, s[0:1], 0, v5, s[0:1]
	v_cmp_le_u32_e32 vcc, s7, v1
	v_add_co_u32_e64 v11, s[0:1], 1, v4
	v_cndmask_b32_e64 v7, 0, -1, vcc
	v_cmp_le_u32_e32 vcc, s6, v0
	v_addc_co_u32_e64 v12, s[0:1], 0, v5, s[0:1]
	v_cndmask_b32_e64 v0, 0, -1, vcc
	v_cmp_eq_u32_e32 vcc, s7, v1
	v_cmp_ne_u32_e64 s[0:1], 0, v8
	v_cndmask_b32_e32 v0, v7, v0, vcc
	v_cmp_ne_u32_e32 vcc, 0, v0
	v_cndmask_b32_e64 v1, v11, v9, s[0:1]
	v_cndmask_b32_e64 v8, v12, v10, s[0:1]
	v_cndmask_b32_e32 v1, v4, v1, vcc
	v_xor_b32_e32 v4, s4, v6
	v_cndmask_b32_e32 v0, v5, v8, vcc
	v_xor_b32_e32 v1, v1, v4
	v_xor_b32_e32 v0, v0, v4
	v_sub_co_u32_e32 v8, vcc, v1, v4
	v_subb_co_u32_e32 v9, vcc, v0, v4, vcc
.LBB87_2:
	s_or_saveexec_b64 s[0:1], s[2:3]
	s_load_dwordx2 s[2:3], s[16:17], 0x0
	s_xor_b64 exec, exec, s[0:1]
	s_cbranch_execz .LBB87_4
; %bb.3:
	v_cvt_f32_u32_e32 v0, s26
	s_sub_i32 s4, 0, s26
	v_mov_b32_e32 v9, 0
	v_rcp_iflag_f32_e32 v0, v0
	v_mul_f32_e32 v0, 0x4f7ffffe, v0
	v_cvt_u32_f32_e32 v0, v0
	v_mul_lo_u32 v1, s4, v0
	v_mul_hi_u32 v1, v0, v1
	v_add_u32_e32 v0, v0, v1
	v_mul_hi_u32 v0, v2, v0
	v_mul_lo_u32 v1, v0, s26
	v_sub_u32_e32 v1, v2, v1
	v_add_u32_e32 v4, 1, v0
	v_subrev_u32_e32 v5, s26, v1
	v_cmp_le_u32_e32 vcc, s26, v1
	v_cndmask_b32_e32 v1, v1, v5, vcc
	v_cndmask_b32_e32 v0, v0, v4, vcc
	v_add_u32_e32 v4, 1, v0
	v_cmp_le_u32_e32 vcc, s26, v1
	v_cndmask_b32_e32 v8, v0, v4, vcc
.LBB87_4:
	s_or_b64 exec, exec, s[0:1]
	v_mul_lo_u32 v0, v9, s26
	v_mul_lo_u32 v1, v8, s27
	v_mad_u64_u32 v[6:7], s[0:1], v8, s26, 0
	v_add3_u32 v7, v7, v1, v0
	v_sub_co_u32_e32 v0, vcc, v2, v6
	v_subb_co_u32_e32 v1, vcc, v3, v7, vcc
	v_cmp_gt_i64_e32 vcc, s[12:13], v[0:1]
	s_waitcnt lgkmcnt(0)
	v_cmp_gt_i64_e64 s[0:1], s[2:3], v[8:9]
	s_and_b64 s[0:1], vcc, s[0:1]
	s_and_saveexec_b64 s[4:5], s[0:1]
	s_cbranch_execz .LBB87_15
; %bb.5:
	v_lshlrev_b64 v[4:5], 2, v[8:9]
	v_mov_b32_e32 v11, s21
	v_add_co_u32_e32 v10, vcc, s20, v4
	v_addc_co_u32_e32 v11, vcc, v11, v5, vcc
	global_load_dword v12, v[10:11], off
	s_add_u32 s0, s2, -1
	s_addc_u32 s1, s3, -1
	v_cmp_ne_u64_e32 vcc, s[0:1], v[8:9]
                                        ; implicit-def: $vgpr9
	s_and_saveexec_b64 s[0:1], vcc
	s_xor_b64 s[0:1], exec, s[0:1]
	s_cbranch_execz .LBB87_7
; %bb.6:
	global_load_dword v9, v[10:11], off offset:4
.LBB87_7:
	s_andn2_saveexec_b64 s[0:1], s[0:1]
	s_cbranch_execz .LBB87_9
; %bb.8:
	s_load_dwordx2 s[2:3], s[22:23], 0x0
	s_waitcnt vmcnt(0) lgkmcnt(0)
	v_mov_b32_e32 v9, s2
.LBB87_9:
	s_or_b64 exec, exec, s[0:1]
	s_waitcnt vmcnt(0)
	v_cmp_lt_i32_e32 vcc, v12, v9
	v_mov_b32_e32 v8, 0
	s_and_saveexec_b64 s[0:1], vcc
	s_cbranch_execz .LBB87_13
; %bb.10:
	v_ashrrev_i32_e32 v8, 31, v12
	v_mul_lo_u32 v13, s13, v12
	v_mul_lo_u32 v8, s12, v8
	v_mad_u64_u32 v[10:11], s[2:3], s12, v12, 0
	v_add3_u32 v11, v11, v8, v13
	v_lshlrev_b64 v[10:11], 2, v[10:11]
	v_lshlrev_b64 v[2:3], 2, v[2:3]
	v_add_co_u32_e32 v8, vcc, v10, v2
	v_addc_co_u32_e32 v10, vcc, v11, v3, vcc
	v_lshlrev_b64 v[2:3], 2, v[6:7]
	v_sub_co_u32_e32 v2, vcc, v8, v2
	v_subb_co_u32_e32 v3, vcc, v10, v3, vcc
	v_mov_b32_e32 v6, s19
	v_add_co_u32_e32 v2, vcc, s18, v2
	s_lshl_b64 s[4:5], s[12:13], 2
	v_addc_co_u32_e32 v3, vcc, v6, v3, vcc
	s_mov_b64 s[2:3], 0
	v_mov_b32_e32 v8, 0
	v_mov_b32_e32 v6, s5
.LBB87_11:                              ; =>This Inner Loop Header: Depth=1
	global_load_dword v7, v[2:3], off
	v_add_co_u32_e32 v2, vcc, s4, v2
	v_add_u32_e32 v12, 1, v12
	v_addc_co_u32_e32 v3, vcc, v3, v6, vcc
	v_cmp_ge_i32_e32 vcc, v12, v9
	s_or_b64 s[2:3], vcc, s[2:3]
	s_waitcnt vmcnt(0)
	v_add_f32_e32 v8, v8, v7
	s_andn2_b64 exec, exec, s[2:3]
	s_cbranch_execnz .LBB87_11
; %bb.12:
	s_or_b64 exec, exec, s[2:3]
.LBB87_13:
	s_or_b64 exec, exec, s[0:1]
	v_mov_b32_e32 v3, s15
	v_add_co_u32_e32 v2, vcc, s14, v4
	v_addc_co_u32_e32 v3, vcc, v3, v5, vcc
	global_load_dword v2, v[2:3], off
	v_mov_b32_e32 v4, s9
	s_waitcnt vmcnt(0)
	v_ashrrev_i32_e32 v3, 31, v2
	v_lshlrev_b64 v[2:3], 2, v[2:3]
	v_add_co_u32_e32 v2, vcc, s8, v2
	v_addc_co_u32_e32 v3, vcc, v4, v3, vcc
	global_load_dword v2, v[2:3], off
	s_waitcnt vmcnt(0)
	v_ashrrev_i32_e32 v3, 31, v2
	v_cmp_ne_u64_e32 vcc, s[24:25], v[2:3]
	s_and_b64 exec, exec, vcc
	s_cbranch_execz .LBB87_15
; %bb.14:
	v_mul_lo_u32 v4, v3, s12
	v_mul_lo_u32 v5, v2, s13
	v_mad_u64_u32 v[2:3], s[0:1], v2, s12, 0
	v_add3_u32 v3, v3, v5, v4
	v_lshlrev_b64 v[2:3], 2, v[2:3]
	v_mov_b32_e32 v4, s11
	v_add_co_u32_e32 v2, vcc, s10, v2
	v_addc_co_u32_e32 v3, vcc, v4, v3, vcc
	v_lshlrev_b64 v[0:1], 2, v[0:1]
	v_add_co_u32_e32 v0, vcc, v2, v0
	v_addc_co_u32_e32 v1, vcc, v3, v1, vcc
	global_store_dword v[0:1], v8, off
.LBB87_15:
	s_endpgm
	.section	.rodata,"a",@progbits
	.p2align	6, 0x0
	.amdhsa_kernel _ZN2at6native12_GLOBAL__N_115sum_and_scatterIfiEEvPKT0_PT_lS5_PKlPKNS_14AccumulateTypeIS6_Lb1EE4typeES5_S9_ll
		.amdhsa_group_segment_fixed_size 0
		.amdhsa_private_segment_fixed_size 0
		.amdhsa_kernarg_size 336
		.amdhsa_user_sgpr_count 6
		.amdhsa_user_sgpr_private_segment_buffer 1
		.amdhsa_user_sgpr_dispatch_ptr 0
		.amdhsa_user_sgpr_queue_ptr 0
		.amdhsa_user_sgpr_kernarg_segment_ptr 1
		.amdhsa_user_sgpr_dispatch_id 0
		.amdhsa_user_sgpr_flat_scratch_init 0
		.amdhsa_user_sgpr_kernarg_preload_length 0
		.amdhsa_user_sgpr_kernarg_preload_offset 0
		.amdhsa_user_sgpr_private_segment_size 0
		.amdhsa_uses_dynamic_stack 0
		.amdhsa_system_sgpr_private_segment_wavefront_offset 0
		.amdhsa_system_sgpr_workgroup_id_x 1
		.amdhsa_system_sgpr_workgroup_id_y 0
		.amdhsa_system_sgpr_workgroup_id_z 0
		.amdhsa_system_sgpr_workgroup_info 0
		.amdhsa_system_vgpr_workitem_id 0
		.amdhsa_next_free_vgpr 14
		.amdhsa_next_free_sgpr 28
		.amdhsa_accum_offset 16
		.amdhsa_reserve_vcc 1
		.amdhsa_reserve_flat_scratch 0
		.amdhsa_float_round_mode_32 0
		.amdhsa_float_round_mode_16_64 0
		.amdhsa_float_denorm_mode_32 3
		.amdhsa_float_denorm_mode_16_64 3
		.amdhsa_dx10_clamp 1
		.amdhsa_ieee_mode 1
		.amdhsa_fp16_overflow 0
		.amdhsa_tg_split 0
		.amdhsa_exception_fp_ieee_invalid_op 0
		.amdhsa_exception_fp_denorm_src 0
		.amdhsa_exception_fp_ieee_div_zero 0
		.amdhsa_exception_fp_ieee_overflow 0
		.amdhsa_exception_fp_ieee_underflow 0
		.amdhsa_exception_fp_ieee_inexact 0
		.amdhsa_exception_int_div_zero 0
	.end_amdhsa_kernel
	.section	.text._ZN2at6native12_GLOBAL__N_115sum_and_scatterIfiEEvPKT0_PT_lS5_PKlPKNS_14AccumulateTypeIS6_Lb1EE4typeES5_S9_ll,"axG",@progbits,_ZN2at6native12_GLOBAL__N_115sum_and_scatterIfiEEvPKT0_PT_lS5_PKlPKNS_14AccumulateTypeIS6_Lb1EE4typeES5_S9_ll,comdat
.Lfunc_end87:
	.size	_ZN2at6native12_GLOBAL__N_115sum_and_scatterIfiEEvPKT0_PT_lS5_PKlPKNS_14AccumulateTypeIS6_Lb1EE4typeES5_S9_ll, .Lfunc_end87-_ZN2at6native12_GLOBAL__N_115sum_and_scatterIfiEEvPKT0_PT_lS5_PKlPKNS_14AccumulateTypeIS6_Lb1EE4typeES5_S9_ll
                                        ; -- End function
	.section	.AMDGPU.csdata,"",@progbits
; Kernel info:
; codeLenInByte = 1364
; NumSgprs: 32
; NumVgprs: 14
; NumAgprs: 0
; TotalNumVgprs: 14
; ScratchSize: 0
; MemoryBound: 0
; FloatMode: 240
; IeeeMode: 1
; LDSByteSize: 0 bytes/workgroup (compile time only)
; SGPRBlocks: 3
; VGPRBlocks: 1
; NumSGPRsForWavesPerEU: 32
; NumVGPRsForWavesPerEU: 14
; AccumOffset: 16
; Occupancy: 8
; WaveLimiterHint : 1
; COMPUTE_PGM_RSRC2:SCRATCH_EN: 0
; COMPUTE_PGM_RSRC2:USER_SGPR: 6
; COMPUTE_PGM_RSRC2:TRAP_HANDLER: 0
; COMPUTE_PGM_RSRC2:TGID_X_EN: 1
; COMPUTE_PGM_RSRC2:TGID_Y_EN: 0
; COMPUTE_PGM_RSRC2:TGID_Z_EN: 0
; COMPUTE_PGM_RSRC2:TIDIG_COMP_CNT: 0
; COMPUTE_PGM_RSRC3_GFX90A:ACCUM_OFFSET: 3
; COMPUTE_PGM_RSRC3_GFX90A:TG_SPLIT: 0
	.section	.text._ZN2at6native12_GLOBAL__N_137compute_grad_weight_atomic_accumulateIN3c104HalfEfiEEvPKT1_PKT_S7_llS7_PKlS7_S7_S7_PT0_ll,"axG",@progbits,_ZN2at6native12_GLOBAL__N_137compute_grad_weight_atomic_accumulateIN3c104HalfEfiEEvPKT1_PKT_S7_llS7_PKlS7_S7_S7_PT0_ll,comdat
	.globl	_ZN2at6native12_GLOBAL__N_137compute_grad_weight_atomic_accumulateIN3c104HalfEfiEEvPKT1_PKT_S7_llS7_PKlS7_S7_S7_PT0_ll ; -- Begin function _ZN2at6native12_GLOBAL__N_137compute_grad_weight_atomic_accumulateIN3c104HalfEfiEEvPKT1_PKT_S7_llS7_PKlS7_S7_S7_PT0_ll
	.p2align	8
	.type	_ZN2at6native12_GLOBAL__N_137compute_grad_weight_atomic_accumulateIN3c104HalfEfiEEvPKT1_PKT_S7_llS7_PKlS7_S7_S7_PT0_ll,@function
_ZN2at6native12_GLOBAL__N_137compute_grad_weight_atomic_accumulateIN3c104HalfEfiEEvPKT1_PKT_S7_llS7_PKlS7_S7_S7_PT0_ll: ; @_ZN2at6native12_GLOBAL__N_137compute_grad_weight_atomic_accumulateIN3c104HalfEfiEEvPKT1_PKT_S7_llS7_PKlS7_S7_S7_PT0_ll
; %bb.0:
	s_load_dword s0, s[4:5], 0x74
	s_load_dwordx2 s[2:3], s[4:5], 0x60
	v_mov_b32_e32 v2, 0
                                        ; implicit-def: $vgpr6_vgpr7
	s_waitcnt lgkmcnt(0)
	s_and_b32 s0, s0, 0xffff
	s_mul_i32 s6, s6, s0
	v_add_u32_e32 v0, s6, v0
	v_ashrrev_i32_e32 v1, 31, v0
	v_or_b32_e32 v3, s3, v1
	v_cmp_ne_u64_e32 vcc, 0, v[2:3]
	s_and_saveexec_b64 s[0:1], vcc
	s_xor_b64 s[6:7], exec, s[0:1]
	s_cbranch_execz .LBB88_2
; %bb.1:
	s_ashr_i32 s8, s3, 31
	s_add_u32 s0, s2, s8
	s_mov_b32 s9, s8
	s_addc_u32 s1, s3, s8
	s_xor_b64 s[10:11], s[0:1], s[8:9]
	v_cvt_f32_u32_e32 v2, s10
	v_cvt_f32_u32_e32 v3, s11
	s_sub_u32 s0, 0, s10
	s_subb_u32 s1, 0, s11
	v_madmk_f32 v2, v3, 0x4f800000, v2
	v_rcp_f32_e32 v2, v2
	v_mul_f32_e32 v2, 0x5f7ffffc, v2
	v_mul_f32_e32 v3, 0x2f800000, v2
	v_trunc_f32_e32 v3, v3
	v_madmk_f32 v2, v3, 0xcf800000, v2
	v_cvt_u32_f32_e32 v3, v3
	v_cvt_u32_f32_e32 v2, v2
	v_mul_lo_u32 v4, s0, v3
	v_mul_hi_u32 v6, s0, v2
	v_mul_lo_u32 v5, s1, v2
	v_add_u32_e32 v4, v6, v4
	v_mul_lo_u32 v7, s0, v2
	v_add_u32_e32 v4, v4, v5
	v_mul_lo_u32 v6, v2, v4
	v_mul_hi_u32 v8, v2, v7
	v_mul_hi_u32 v5, v2, v4
	v_add_co_u32_e32 v6, vcc, v8, v6
	v_addc_co_u32_e32 v5, vcc, 0, v5, vcc
	v_mul_hi_u32 v9, v3, v7
	v_mul_lo_u32 v7, v3, v7
	v_add_co_u32_e32 v6, vcc, v6, v7
	v_mul_hi_u32 v8, v3, v4
	v_addc_co_u32_e32 v5, vcc, v5, v9, vcc
	v_addc_co_u32_e32 v6, vcc, 0, v8, vcc
	v_mul_lo_u32 v4, v3, v4
	v_add_co_u32_e32 v4, vcc, v5, v4
	v_addc_co_u32_e32 v5, vcc, 0, v6, vcc
	v_add_co_u32_e32 v2, vcc, v2, v4
	v_addc_co_u32_e32 v3, vcc, v3, v5, vcc
	v_mul_lo_u32 v4, s0, v3
	v_mul_hi_u32 v5, s0, v2
	v_add_u32_e32 v4, v5, v4
	v_mul_lo_u32 v5, s1, v2
	v_add_u32_e32 v4, v4, v5
	v_mul_lo_u32 v6, s0, v2
	v_mul_hi_u32 v7, v3, v6
	v_mul_lo_u32 v8, v3, v6
	v_mul_lo_u32 v10, v2, v4
	v_mul_hi_u32 v6, v2, v6
	v_mul_hi_u32 v9, v2, v4
	v_add_co_u32_e32 v6, vcc, v6, v10
	v_addc_co_u32_e32 v9, vcc, 0, v9, vcc
	v_add_co_u32_e32 v6, vcc, v6, v8
	v_mul_hi_u32 v5, v3, v4
	v_addc_co_u32_e32 v6, vcc, v9, v7, vcc
	v_addc_co_u32_e32 v5, vcc, 0, v5, vcc
	v_mul_lo_u32 v4, v3, v4
	v_add_co_u32_e32 v4, vcc, v6, v4
	v_addc_co_u32_e32 v5, vcc, 0, v5, vcc
	v_add_co_u32_e32 v6, vcc, v2, v4
	v_addc_co_u32_e32 v7, vcc, v3, v5, vcc
	v_mov_b32_e32 v2, v1
	v_mov_b32_e32 v3, v1
	v_add_co_u32_e32 v4, vcc, v0, v2
	v_addc_co_u32_e32 v5, vcc, v1, v3, vcc
	v_xor_b32_e32 v9, v4, v2
	v_xor_b32_e32 v8, v5, v3
	v_mad_u64_u32 v[4:5], s[0:1], v9, v7, 0
	v_mul_hi_u32 v10, v9, v6
	v_add_co_u32_e32 v10, vcc, v10, v4
	v_addc_co_u32_e32 v11, vcc, 0, v5, vcc
	v_mad_u64_u32 v[4:5], s[0:1], v8, v7, 0
	v_mad_u64_u32 v[6:7], s[0:1], v8, v6, 0
	v_add_co_u32_e32 v6, vcc, v10, v6
	v_addc_co_u32_e32 v6, vcc, v11, v7, vcc
	v_addc_co_u32_e32 v5, vcc, 0, v5, vcc
	v_add_co_u32_e32 v6, vcc, v6, v4
	v_addc_co_u32_e32 v7, vcc, 0, v5, vcc
	v_mul_lo_u32 v10, s11, v6
	v_mul_lo_u32 v11, s10, v7
	v_mad_u64_u32 v[4:5], s[0:1], s10, v6, 0
	v_add3_u32 v5, v5, v11, v10
	v_sub_u32_e32 v10, v8, v5
	v_mov_b32_e32 v11, s11
	v_sub_co_u32_e32 v4, vcc, v9, v4
	v_subb_co_u32_e64 v9, s[0:1], v10, v11, vcc
	v_subrev_co_u32_e64 v10, s[0:1], s10, v4
	v_subbrev_co_u32_e64 v9, s[0:1], 0, v9, s[0:1]
	v_cmp_le_u32_e64 s[0:1], s11, v9
	v_cndmask_b32_e64 v11, 0, -1, s[0:1]
	v_cmp_le_u32_e64 s[0:1], s10, v10
	v_cndmask_b32_e64 v10, 0, -1, s[0:1]
	v_cmp_eq_u32_e64 s[0:1], s11, v9
	v_cndmask_b32_e64 v9, v11, v10, s[0:1]
	v_add_co_u32_e64 v10, s[0:1], 2, v6
	v_subb_co_u32_e32 v5, vcc, v8, v5, vcc
	v_addc_co_u32_e64 v11, s[0:1], 0, v7, s[0:1]
	v_cmp_le_u32_e32 vcc, s11, v5
	v_add_co_u32_e64 v12, s[0:1], 1, v6
	v_cndmask_b32_e64 v8, 0, -1, vcc
	v_cmp_le_u32_e32 vcc, s10, v4
	v_addc_co_u32_e64 v13, s[0:1], 0, v7, s[0:1]
	v_cndmask_b32_e64 v4, 0, -1, vcc
	v_cmp_eq_u32_e32 vcc, s11, v5
	v_cmp_ne_u32_e64 s[0:1], 0, v9
	v_cndmask_b32_e32 v4, v8, v4, vcc
	v_cmp_ne_u32_e32 vcc, 0, v4
	v_cndmask_b32_e64 v5, v12, v10, s[0:1]
	v_cndmask_b32_e64 v9, v13, v11, s[0:1]
	v_cndmask_b32_e32 v5, v6, v5, vcc
	v_xor_b32_e32 v2, s8, v2
	v_cndmask_b32_e32 v4, v7, v9, vcc
	v_xor_b32_e32 v3, s8, v3
	v_xor_b32_e32 v5, v5, v2
	;; [unrolled: 1-line block ×3, first 2 shown]
	v_sub_co_u32_e32 v6, vcc, v5, v2
	v_subb_co_u32_e32 v7, vcc, v4, v3, vcc
.LBB88_2:
	s_or_saveexec_b64 s[0:1], s[6:7]
	s_load_dwordx16 s[8:23], s[4:5], 0x0
	s_xor_b64 exec, exec, s[0:1]
	s_cbranch_execz .LBB88_4
; %bb.3:
	v_cvt_f32_u32_e32 v2, s2
	s_sub_i32 s6, 0, s2
	v_mov_b32_e32 v7, 0
	v_rcp_iflag_f32_e32 v2, v2
	v_mul_f32_e32 v2, 0x4f7ffffe, v2
	v_cvt_u32_f32_e32 v2, v2
	v_mul_lo_u32 v3, s6, v2
	v_mul_hi_u32 v3, v2, v3
	v_add_u32_e32 v2, v2, v3
	v_mul_hi_u32 v2, v0, v2
	v_mul_lo_u32 v3, v2, s2
	v_sub_u32_e32 v3, v0, v3
	v_add_u32_e32 v4, 1, v2
	v_subrev_u32_e32 v5, s2, v3
	v_cmp_le_u32_e32 vcc, s2, v3
	v_cndmask_b32_e32 v3, v3, v5, vcc
	v_cndmask_b32_e32 v2, v2, v4, vcc
	v_add_u32_e32 v4, 1, v2
	v_cmp_le_u32_e32 vcc, s2, v3
	v_cndmask_b32_e32 v6, v2, v4, vcc
.LBB88_4:
	s_or_b64 exec, exec, s[0:1]
	v_mul_lo_u32 v4, v7, s2
	v_mul_lo_u32 v5, v6, s3
	v_mad_u64_u32 v[2:3], s[0:1], v6, s2, 0
	v_add3_u32 v3, v3, v5, v4
	v_sub_co_u32_e32 v0, vcc, v0, v2
	v_subb_co_u32_e32 v1, vcc, v1, v3, vcc
	s_waitcnt lgkmcnt(0)
	v_cmp_gt_i64_e32 vcc, s[16:17], v[0:1]
	s_and_saveexec_b64 s[0:1], vcc
	s_cbranch_execz .LBB88_19
; %bb.5:
	s_load_dwordx2 s[0:1], s[20:21], 0x0
	v_ashrrev_i32_e32 v7, 31, v6
	s_waitcnt lgkmcnt(0)
	v_cmp_gt_i64_e32 vcc, s[0:1], v[6:7]
	s_and_b64 exec, exec, vcc
	s_cbranch_execz .LBB88_19
; %bb.6:
	v_lshlrev_b64 v[2:3], 2, v[6:7]
	v_mov_b32_e32 v5, s19
	v_add_co_u32_e32 v4, vcc, s18, v2
	v_addc_co_u32_e32 v5, vcc, v5, v3, vcc
	global_load_dword v4, v[4:5], off
	s_add_u32 s0, s0, -1
	s_addc_u32 s1, s1, -1
	v_cmp_ne_u64_e32 vcc, s[0:1], v[6:7]
                                        ; implicit-def: $vgpr10
	s_and_saveexec_b64 s[0:1], vcc
	s_xor_b64 s[0:1], exec, s[0:1]
	s_cbranch_execz .LBB88_8
; %bb.7:
	v_mov_b32_e32 v5, v6
	v_add_co_u32_e64 v6, vcc, 0, 0
	v_addc_co_u32_e32 v7, vcc, 1, v5, vcc
	v_ashrrev_i64 v[6:7], 30, v[6:7]
	v_mov_b32_e32 v5, s19
	v_add_co_u32_e32 v6, vcc, s18, v6
	v_addc_co_u32_e32 v7, vcc, v5, v7, vcc
	global_load_dword v10, v[6:7], off
.LBB88_8:
	s_or_saveexec_b64 s[0:1], s[0:1]
	s_load_dwordx8 s[24:31], s[4:5], 0x40
	s_xor_b64 exec, exec, s[0:1]
	s_cbranch_execz .LBB88_10
; %bb.9:
	s_waitcnt vmcnt(0)
	v_mov_b32_e32 v10, s14
.LBB88_10:
	s_or_b64 exec, exec, s[0:1]
	s_waitcnt vmcnt(0)
	v_cmp_lt_i32_e32 vcc, v4, v10
	v_mov_b32_e32 v5, 0
	s_and_saveexec_b64 s[2:3], vcc
	s_cbranch_execz .LBB88_17
; %bb.11:
	v_lshlrev_b64 v[6:7], 1, v[0:1]
	v_mov_b32_e32 v5, s11
	v_add_co_u32_e32 v11, vcc, s10, v6
	v_addc_co_u32_e32 v12, vcc, v5, v7, vcc
	v_ashrrev_i32_e32 v5, 31, v4
	v_lshlrev_b64 v[8:9], 2, v[4:5]
	s_cmp_lg_u64 s[12:13], 0
	v_mov_b32_e32 v5, s9
	v_add_co_u32_e32 v6, vcc, s8, v8
	v_addc_co_u32_e32 v7, vcc, v5, v9, vcc
	s_cselect_b64 s[0:1], -1, 0
	v_mov_b32_e32 v5, s13
	v_add_co_u32_e32 v8, vcc, s12, v8
	v_cndmask_b32_e64 v13, 0, 1, s[0:1]
	s_mov_b64 s[4:5], 0
	v_addc_co_u32_e32 v9, vcc, v5, v9, vcc
	v_mov_b32_e32 v5, 0
	v_cmp_ne_u32_e64 s[0:1], 1, v13
	s_branch .LBB88_14
.LBB88_12:                              ;   in Loop: Header=BB88_14 Depth=1
	global_load_dword v13, v[8:9], off
	s_waitcnt vmcnt(0)
	v_cvt_f32_i32_e32 v13, v13
	v_div_scale_f32 v15, s[6:7], v13, v13, 1.0
	v_rcp_f32_e32 v16, v15
	v_div_scale_f32 v17, vcc, 1.0, v13, 1.0
	v_fma_f32 v18, -v15, v16, 1.0
	v_fmac_f32_e32 v16, v18, v16
	v_mul_f32_e32 v18, v17, v16
	v_fma_f32 v19, -v15, v18, v17
	v_fmac_f32_e32 v18, v19, v16
	v_fma_f32 v15, -v15, v18, v17
	v_div_fmas_f32 v15, v15, v16, v18
	v_div_fixup_f32 v13, v15, v13, 1.0
.LBB88_13:                              ;   in Loop: Header=BB88_14 Depth=1
	s_waitcnt vmcnt(0)
	v_ashrrev_i32_e32 v15, 31, v14
	v_mul_lo_u32 v16, v14, s17
	v_mul_lo_u32 v17, v15, s16
	v_mad_u64_u32 v[14:15], s[6:7], v14, s16, 0
	v_add3_u32 v15, v15, v16, v17
	v_lshlrev_b64 v[14:15], 1, v[14:15]
	v_add_co_u32_e32 v14, vcc, v11, v14
	v_addc_co_u32_e32 v15, vcc, v12, v15, vcc
	global_load_ushort v14, v[14:15], off
	v_add_co_u32_e32 v6, vcc, 4, v6
	v_add_u32_e32 v4, 1, v4
	v_addc_co_u32_e32 v7, vcc, 0, v7, vcc
	v_cmp_ge_i32_e32 vcc, v4, v10
	s_or_b64 s[4:5], vcc, s[4:5]
	v_add_co_u32_e32 v8, vcc, 4, v8
	v_addc_co_u32_e32 v9, vcc, 0, v9, vcc
	s_waitcnt vmcnt(0)
	v_fma_mix_f32 v5, v13, v14, v5 op_sel_hi:[0,1,0]
	s_andn2_b64 exec, exec, s[4:5]
	s_cbranch_execz .LBB88_16
.LBB88_14:                              ; =>This Inner Loop Header: Depth=1
	global_load_dword v14, v[6:7], off
	s_and_b64 vcc, exec, s[0:1]
	s_cbranch_vccz .LBB88_12
; %bb.15:                               ;   in Loop: Header=BB88_14 Depth=1
	v_mov_b32_e32 v13, 1.0
	s_branch .LBB88_13
.LBB88_16:
	s_or_b64 exec, exec, s[4:5]
.LBB88_17:
	s_or_b64 exec, exec, s[2:3]
	s_waitcnt lgkmcnt(0)
	v_mov_b32_e32 v4, s25
	v_add_co_u32_e32 v2, vcc, s24, v2
	v_addc_co_u32_e32 v3, vcc, v4, v3, vcc
	global_load_dword v2, v[2:3], off
	v_mov_b32_e32 v4, s27
	s_waitcnt vmcnt(0)
	v_ashrrev_i32_e32 v3, 31, v2
	v_lshlrev_b64 v[2:3], 2, v[2:3]
	v_add_co_u32_e32 v2, vcc, s26, v2
	v_addc_co_u32_e32 v3, vcc, v4, v3, vcc
	global_load_dword v2, v[2:3], off
	v_mov_b32_e32 v4, s23
	s_waitcnt vmcnt(0)
	v_ashrrev_i32_e32 v3, 31, v2
	v_lshlrev_b64 v[2:3], 2, v[2:3]
	v_add_co_u32_e32 v2, vcc, s22, v2
	v_addc_co_u32_e32 v3, vcc, v4, v3, vcc
	global_load_dword v2, v[2:3], off
	s_waitcnt vmcnt(0)
	v_ashrrev_i32_e32 v3, 31, v2
	v_cmp_ne_u64_e32 vcc, s[30:31], v[2:3]
	s_and_b64 exec, exec, vcc
	s_cbranch_execz .LBB88_19
; %bb.18:
	v_mul_lo_u32 v4, v3, s16
	v_mul_lo_u32 v6, v2, s17
	v_mad_u64_u32 v[2:3], s[0:1], v2, s16, 0
	v_add3_u32 v3, v3, v6, v4
	v_lshlrev_b64 v[2:3], 2, v[2:3]
	v_mov_b32_e32 v4, s29
	v_add_co_u32_e32 v2, vcc, s28, v2
	v_addc_co_u32_e32 v3, vcc, v4, v3, vcc
	v_lshlrev_b64 v[0:1], 2, v[0:1]
	v_add_co_u32_e32 v0, vcc, v2, v0
	v_addc_co_u32_e32 v1, vcc, v3, v1, vcc
	global_atomic_add_f32 v[0:1], v5, off
.LBB88_19:
	s_endpgm
	.section	.rodata,"a",@progbits
	.p2align	6, 0x0
	.amdhsa_kernel _ZN2at6native12_GLOBAL__N_137compute_grad_weight_atomic_accumulateIN3c104HalfEfiEEvPKT1_PKT_S7_llS7_PKlS7_S7_S7_PT0_ll
		.amdhsa_group_segment_fixed_size 0
		.amdhsa_private_segment_fixed_size 0
		.amdhsa_kernarg_size 360
		.amdhsa_user_sgpr_count 6
		.amdhsa_user_sgpr_private_segment_buffer 1
		.amdhsa_user_sgpr_dispatch_ptr 0
		.amdhsa_user_sgpr_queue_ptr 0
		.amdhsa_user_sgpr_kernarg_segment_ptr 1
		.amdhsa_user_sgpr_dispatch_id 0
		.amdhsa_user_sgpr_flat_scratch_init 0
		.amdhsa_user_sgpr_kernarg_preload_length 0
		.amdhsa_user_sgpr_kernarg_preload_offset 0
		.amdhsa_user_sgpr_private_segment_size 0
		.amdhsa_uses_dynamic_stack 0
		.amdhsa_system_sgpr_private_segment_wavefront_offset 0
		.amdhsa_system_sgpr_workgroup_id_x 1
		.amdhsa_system_sgpr_workgroup_id_y 0
		.amdhsa_system_sgpr_workgroup_id_z 0
		.amdhsa_system_sgpr_workgroup_info 0
		.amdhsa_system_vgpr_workitem_id 0
		.amdhsa_next_free_vgpr 20
		.amdhsa_next_free_sgpr 32
		.amdhsa_accum_offset 20
		.amdhsa_reserve_vcc 1
		.amdhsa_reserve_flat_scratch 0
		.amdhsa_float_round_mode_32 0
		.amdhsa_float_round_mode_16_64 0
		.amdhsa_float_denorm_mode_32 3
		.amdhsa_float_denorm_mode_16_64 3
		.amdhsa_dx10_clamp 1
		.amdhsa_ieee_mode 1
		.amdhsa_fp16_overflow 0
		.amdhsa_tg_split 0
		.amdhsa_exception_fp_ieee_invalid_op 0
		.amdhsa_exception_fp_denorm_src 0
		.amdhsa_exception_fp_ieee_div_zero 0
		.amdhsa_exception_fp_ieee_overflow 0
		.amdhsa_exception_fp_ieee_underflow 0
		.amdhsa_exception_fp_ieee_inexact 0
		.amdhsa_exception_int_div_zero 0
	.end_amdhsa_kernel
	.section	.text._ZN2at6native12_GLOBAL__N_137compute_grad_weight_atomic_accumulateIN3c104HalfEfiEEvPKT1_PKT_S7_llS7_PKlS7_S7_S7_PT0_ll,"axG",@progbits,_ZN2at6native12_GLOBAL__N_137compute_grad_weight_atomic_accumulateIN3c104HalfEfiEEvPKT1_PKT_S7_llS7_PKlS7_S7_S7_PT0_ll,comdat
.Lfunc_end88:
	.size	_ZN2at6native12_GLOBAL__N_137compute_grad_weight_atomic_accumulateIN3c104HalfEfiEEvPKT1_PKT_S7_llS7_PKlS7_S7_S7_PT0_ll, .Lfunc_end88-_ZN2at6native12_GLOBAL__N_137compute_grad_weight_atomic_accumulateIN3c104HalfEfiEEvPKT1_PKT_S7_llS7_PKlS7_S7_S7_PT0_ll
                                        ; -- End function
	.section	.AMDGPU.csdata,"",@progbits
; Kernel info:
; codeLenInByte = 1624
; NumSgprs: 36
; NumVgprs: 20
; NumAgprs: 0
; TotalNumVgprs: 20
; ScratchSize: 0
; MemoryBound: 0
; FloatMode: 240
; IeeeMode: 1
; LDSByteSize: 0 bytes/workgroup (compile time only)
; SGPRBlocks: 4
; VGPRBlocks: 2
; NumSGPRsForWavesPerEU: 36
; NumVGPRsForWavesPerEU: 20
; AccumOffset: 20
; Occupancy: 8
; WaveLimiterHint : 1
; COMPUTE_PGM_RSRC2:SCRATCH_EN: 0
; COMPUTE_PGM_RSRC2:USER_SGPR: 6
; COMPUTE_PGM_RSRC2:TRAP_HANDLER: 0
; COMPUTE_PGM_RSRC2:TGID_X_EN: 1
; COMPUTE_PGM_RSRC2:TGID_Y_EN: 0
; COMPUTE_PGM_RSRC2:TGID_Z_EN: 0
; COMPUTE_PGM_RSRC2:TIDIG_COMP_CNT: 0
; COMPUTE_PGM_RSRC3_GFX90A:ACCUM_OFFSET: 4
; COMPUTE_PGM_RSRC3_GFX90A:TG_SPLIT: 0
	.section	.text._ZN2at6native12_GLOBAL__N_124compute_grad_weight_bagsIN3c104HalfEiEEvPKT0_PKT_S7_S7_lliS7_SA_lS7_PKlPNS_14AccumulateTypeIS8_Lb1EE4typeEl,"axG",@progbits,_ZN2at6native12_GLOBAL__N_124compute_grad_weight_bagsIN3c104HalfEiEEvPKT0_PKT_S7_S7_lliS7_SA_lS7_PKlPNS_14AccumulateTypeIS8_Lb1EE4typeEl,comdat
	.globl	_ZN2at6native12_GLOBAL__N_124compute_grad_weight_bagsIN3c104HalfEiEEvPKT0_PKT_S7_S7_lliS7_SA_lS7_PKlPNS_14AccumulateTypeIS8_Lb1EE4typeEl ; -- Begin function _ZN2at6native12_GLOBAL__N_124compute_grad_weight_bagsIN3c104HalfEiEEvPKT0_PKT_S7_S7_lliS7_SA_lS7_PKlPNS_14AccumulateTypeIS8_Lb1EE4typeEl
	.p2align	8
	.type	_ZN2at6native12_GLOBAL__N_124compute_grad_weight_bagsIN3c104HalfEiEEvPKT0_PKT_S7_S7_lliS7_SA_lS7_PKlPNS_14AccumulateTypeIS8_Lb1EE4typeEl,@function
_ZN2at6native12_GLOBAL__N_124compute_grad_weight_bagsIN3c104HalfEiEEvPKT0_PKT_S7_S7_lliS7_SA_lS7_PKlPNS_14AccumulateTypeIS8_Lb1EE4typeEl: ; @_ZN2at6native12_GLOBAL__N_124compute_grad_weight_bagsIN3c104HalfEiEEvPKT0_PKT_S7_S7_lliS7_SA_lS7_PKlPNS_14AccumulateTypeIS8_Lb1EE4typeEl
; %bb.0:
	s_load_dword s0, s[4:5], 0x7c
	s_load_dwordx4 s[24:27], s[4:5], 0x58
	s_load_dwordx2 s[2:3], s[4:5], 0x68
	v_mov_b32_e32 v1, 0
	v_mov_b32_e32 v2, s6
	s_waitcnt lgkmcnt(0)
	s_and_b32 s0, s0, 0xffff
	v_mad_u64_u32 v[2:3], s[0:1], s0, v2, v[0:1]
	v_or_b32_e32 v5, s3, v3
	v_mov_b32_e32 v4, v1
	v_cmp_ne_u64_e32 vcc, 0, v[4:5]
                                        ; implicit-def: $vgpr0_vgpr1
	s_and_saveexec_b64 s[0:1], vcc
	s_xor_b64 s[6:7], exec, s[0:1]
	s_cbranch_execz .LBB89_2
; %bb.1:
	s_ashr_i32 s8, s3, 31
	s_add_u32 s0, s2, s8
	s_mov_b32 s9, s8
	s_addc_u32 s1, s3, s8
	s_xor_b64 s[10:11], s[0:1], s[8:9]
	v_cvt_f32_u32_e32 v0, s10
	v_cvt_f32_u32_e32 v1, s11
	s_sub_u32 s0, 0, s10
	s_subb_u32 s1, 0, s11
	v_madmk_f32 v0, v1, 0x4f800000, v0
	v_rcp_f32_e32 v0, v0
	v_mul_f32_e32 v0, 0x5f7ffffc, v0
	v_mul_f32_e32 v1, 0x2f800000, v0
	v_trunc_f32_e32 v1, v1
	v_madmk_f32 v0, v1, 0xcf800000, v0
	v_cvt_u32_f32_e32 v1, v1
	v_cvt_u32_f32_e32 v0, v0
	v_mul_lo_u32 v4, s0, v1
	v_mul_hi_u32 v6, s0, v0
	v_mul_lo_u32 v5, s1, v0
	v_add_u32_e32 v4, v6, v4
	v_mul_lo_u32 v7, s0, v0
	v_add_u32_e32 v4, v4, v5
	v_mul_lo_u32 v6, v0, v4
	v_mul_hi_u32 v8, v0, v7
	v_mul_hi_u32 v5, v0, v4
	v_add_co_u32_e32 v6, vcc, v8, v6
	v_addc_co_u32_e32 v5, vcc, 0, v5, vcc
	v_mul_hi_u32 v9, v1, v7
	v_mul_lo_u32 v7, v1, v7
	v_add_co_u32_e32 v6, vcc, v6, v7
	v_mul_hi_u32 v8, v1, v4
	v_addc_co_u32_e32 v5, vcc, v5, v9, vcc
	v_addc_co_u32_e32 v6, vcc, 0, v8, vcc
	v_mul_lo_u32 v4, v1, v4
	v_add_co_u32_e32 v4, vcc, v5, v4
	v_addc_co_u32_e32 v5, vcc, 0, v6, vcc
	v_add_co_u32_e32 v0, vcc, v0, v4
	v_addc_co_u32_e32 v1, vcc, v1, v5, vcc
	v_mul_lo_u32 v4, s0, v1
	v_mul_hi_u32 v5, s0, v0
	v_add_u32_e32 v4, v5, v4
	v_mul_lo_u32 v5, s1, v0
	v_add_u32_e32 v4, v4, v5
	v_mul_lo_u32 v6, s0, v0
	v_mul_hi_u32 v7, v1, v6
	v_mul_lo_u32 v8, v1, v6
	v_mul_lo_u32 v10, v0, v4
	v_mul_hi_u32 v6, v0, v6
	v_mul_hi_u32 v9, v0, v4
	v_add_co_u32_e32 v6, vcc, v6, v10
	v_addc_co_u32_e32 v9, vcc, 0, v9, vcc
	v_add_co_u32_e32 v6, vcc, v6, v8
	v_mul_hi_u32 v5, v1, v4
	v_addc_co_u32_e32 v6, vcc, v9, v7, vcc
	v_addc_co_u32_e32 v5, vcc, 0, v5, vcc
	v_mul_lo_u32 v4, v1, v4
	v_add_co_u32_e32 v4, vcc, v6, v4
	v_addc_co_u32_e32 v5, vcc, 0, v5, vcc
	v_add_co_u32_e32 v4, vcc, v0, v4
	v_addc_co_u32_e32 v5, vcc, v1, v5, vcc
	v_ashrrev_i32_e32 v6, 31, v3
	v_add_co_u32_e32 v0, vcc, v2, v6
	v_addc_co_u32_e32 v1, vcc, v3, v6, vcc
	v_xor_b32_e32 v8, v0, v6
	v_xor_b32_e32 v7, v1, v6
	v_mad_u64_u32 v[0:1], s[0:1], v8, v5, 0
	v_mul_hi_u32 v9, v8, v4
	v_add_co_u32_e32 v9, vcc, v9, v0
	v_addc_co_u32_e32 v10, vcc, 0, v1, vcc
	v_mad_u64_u32 v[0:1], s[0:1], v7, v5, 0
	v_mad_u64_u32 v[4:5], s[0:1], v7, v4, 0
	v_add_co_u32_e32 v4, vcc, v9, v4
	v_addc_co_u32_e32 v4, vcc, v10, v5, vcc
	v_addc_co_u32_e32 v1, vcc, 0, v1, vcc
	v_add_co_u32_e32 v4, vcc, v4, v0
	v_addc_co_u32_e32 v5, vcc, 0, v1, vcc
	v_mul_lo_u32 v9, s11, v4
	v_mul_lo_u32 v10, s10, v5
	v_mad_u64_u32 v[0:1], s[0:1], s10, v4, 0
	v_add3_u32 v1, v1, v10, v9
	v_sub_u32_e32 v9, v7, v1
	v_mov_b32_e32 v10, s11
	v_sub_co_u32_e32 v0, vcc, v8, v0
	v_subb_co_u32_e64 v8, s[0:1], v9, v10, vcc
	v_subrev_co_u32_e64 v9, s[0:1], s10, v0
	v_subbrev_co_u32_e64 v8, s[0:1], 0, v8, s[0:1]
	v_cmp_le_u32_e64 s[0:1], s11, v8
	v_cndmask_b32_e64 v10, 0, -1, s[0:1]
	v_cmp_le_u32_e64 s[0:1], s10, v9
	v_cndmask_b32_e64 v9, 0, -1, s[0:1]
	v_cmp_eq_u32_e64 s[0:1], s11, v8
	v_cndmask_b32_e64 v8, v10, v9, s[0:1]
	v_add_co_u32_e64 v9, s[0:1], 2, v4
	v_subb_co_u32_e32 v1, vcc, v7, v1, vcc
	v_addc_co_u32_e64 v10, s[0:1], 0, v5, s[0:1]
	v_cmp_le_u32_e32 vcc, s11, v1
	v_add_co_u32_e64 v11, s[0:1], 1, v4
	v_cndmask_b32_e64 v7, 0, -1, vcc
	v_cmp_le_u32_e32 vcc, s10, v0
	v_addc_co_u32_e64 v12, s[0:1], 0, v5, s[0:1]
	v_cndmask_b32_e64 v0, 0, -1, vcc
	v_cmp_eq_u32_e32 vcc, s11, v1
	v_cmp_ne_u32_e64 s[0:1], 0, v8
	v_cndmask_b32_e32 v0, v7, v0, vcc
	v_cndmask_b32_e64 v8, v12, v10, s[0:1]
	v_cmp_ne_u32_e32 vcc, 0, v0
	v_cndmask_b32_e64 v1, v11, v9, s[0:1]
	v_cndmask_b32_e32 v0, v5, v8, vcc
	v_cndmask_b32_e32 v1, v4, v1, vcc
	v_xor_b32_e32 v4, s8, v6
	v_xor_b32_e32 v5, v0, v4
	;; [unrolled: 1-line block ×3, first 2 shown]
	v_sub_co_u32_e32 v0, vcc, v0, v4
	v_subb_co_u32_e32 v1, vcc, v5, v4, vcc
.LBB89_2:
	s_or_saveexec_b64 s[0:1], s[6:7]
	s_load_dwordx2 s[6:7], s[24:25], 0x0
	s_xor_b64 exec, exec, s[0:1]
	s_cbranch_execz .LBB89_4
; %bb.3:
	v_cvt_f32_u32_e32 v0, s2
	s_sub_i32 s8, 0, s2
	v_rcp_iflag_f32_e32 v0, v0
	v_mul_f32_e32 v0, 0x4f7ffffe, v0
	v_cvt_u32_f32_e32 v0, v0
	v_mul_lo_u32 v1, s8, v0
	v_mul_hi_u32 v1, v0, v1
	v_add_u32_e32 v0, v0, v1
	v_mul_hi_u32 v0, v2, v0
	v_mul_lo_u32 v1, v0, s2
	v_sub_u32_e32 v1, v2, v1
	v_add_u32_e32 v4, 1, v0
	v_subrev_u32_e32 v5, s2, v1
	v_cmp_le_u32_e32 vcc, s2, v1
	v_cndmask_b32_e32 v1, v1, v5, vcc
	v_cndmask_b32_e32 v0, v0, v4, vcc
	v_add_u32_e32 v4, 1, v0
	v_cmp_le_u32_e32 vcc, s2, v1
	v_cndmask_b32_e32 v0, v0, v4, vcc
	v_mov_b32_e32 v1, 0
.LBB89_4:
	s_or_b64 exec, exec, s[0:1]
	s_load_dwordx4 s[28:31], s[4:5], 0x20
	v_mul_lo_u32 v6, v1, s2
	v_mul_lo_u32 v7, v0, s3
	v_mad_u64_u32 v[4:5], s[0:1], v0, s2, 0
	v_add3_u32 v5, v5, v7, v6
	v_sub_co_u32_e32 v2, vcc, v2, v4
	v_subb_co_u32_e32 v3, vcc, v3, v5, vcc
	s_waitcnt lgkmcnt(0)
	v_cmp_gt_i64_e32 vcc, s[30:31], v[2:3]
	v_cmp_gt_i64_e64 s[0:1], s[6:7], v[0:1]
	s_and_b64 s[0:1], vcc, s[0:1]
	s_and_saveexec_b64 s[2:3], s[0:1]
	s_cbranch_execz .LBB89_20
; %bb.5:
	s_load_dwordx8 s[8:15], s[4:5], 0x38
	v_lshlrev_b64 v[4:5], 2, v[0:1]
	s_load_dwordx8 s[16:23], s[4:5], 0x0
	s_add_u32 s0, s6, -1
	s_addc_u32 s1, s7, -1
	s_waitcnt lgkmcnt(0)
	v_mov_b32_e32 v7, s15
	v_add_co_u32_e32 v6, vcc, s14, v4
	v_addc_co_u32_e32 v7, vcc, v7, v5, vcc
	global_load_dword v4, v[6:7], off
	v_cmp_ne_u64_e32 vcc, s[0:1], v[0:1]
                                        ; implicit-def: $vgpr16
	s_and_saveexec_b64 s[0:1], vcc
	s_xor_b64 s[0:1], exec, s[0:1]
	s_cbranch_execz .LBB89_7
; %bb.6:
	global_load_dword v16, v[6:7], off offset:4
.LBB89_7:
	s_andn2_saveexec_b64 s[0:1], s[0:1]
	s_cbranch_execz .LBB89_9
; %bb.8:
	s_waitcnt vmcnt(0)
	v_mov_b32_e32 v16, s28
.LBB89_9:
	s_or_b64 exec, exec, s[0:1]
	s_waitcnt vmcnt(0)
	v_cmp_lt_i32_e32 vcc, v4, v16
	v_mov_b32_e32 v5, 0
	s_and_saveexec_b64 s[6:7], vcc
	s_cbranch_execz .LBB89_19
; %bb.10:
	s_load_dword s4, s[4:5], 0x30
	v_lshlrev_b64 v[6:7], 1, v[2:3]
	v_mov_b32_e32 v5, s19
	v_add_co_u32_e32 v17, vcc, s18, v6
	s_cmp_lg_u64 s[22:23], 0
	v_addc_co_u32_e32 v18, vcc, v5, v7, vcc
	v_ashrrev_i32_e32 v5, 31, v4
	s_cselect_b64 s[0:1], -1, 0
	s_cmp_lg_u64 s[10:11], 0
	v_lshlrev_b64 v[8:9], 2, v[4:5]
	s_cselect_b64 s[2:3], -1, 0
	s_waitcnt lgkmcnt(0)
	s_cmp_lg_u32 s4, 0
	v_mov_b32_e32 v5, s17
	v_add_co_u32_e32 v6, vcc, s16, v8
	v_cndmask_b32_e64 v10, 0, 1, s[0:1]
	v_addc_co_u32_e32 v7, vcc, v5, v9, vcc
	v_cmp_ne_u32_e64 s[0:1], 1, v10
	v_cndmask_b32_e64 v10, 0, 1, s[2:3]
	s_cselect_b64 s[4:5], -1, 0
	v_mov_b32_e32 v5, s23
	v_add_co_u32_e32 v8, vcc, s22, v8
	v_cmp_ne_u32_e64 s[2:3], 1, v10
	v_cndmask_b32_e64 v10, 0, 1, s[4:5]
	s_mov_b64 s[14:15], 0
	v_addc_co_u32_e32 v9, vcc, v5, v9, vcc
	v_mov_b32_e32 v5, 0
	v_mov_b32_e32 v19, s21
	v_cmp_ne_u32_e64 s[4:5], 1, v10
	s_branch .LBB89_12
.LBB89_11:                              ;   in Loop: Header=BB89_12 Depth=1
	v_add_co_u32_e32 v6, vcc, 4, v6
	v_add_u32_e32 v4, 1, v4
	v_addc_co_u32_e32 v7, vcc, 0, v7, vcc
	v_cmp_ge_i32_e32 vcc, v4, v16
	s_or_b64 s[14:15], vcc, s[14:15]
	v_add_co_u32_e32 v8, vcc, 4, v8
	v_fmac_f32_e32 v5, v14, v12
	v_addc_co_u32_e32 v9, vcc, 0, v9, vcc
	s_andn2_b64 exec, exec, s[14:15]
	s_cbranch_execz .LBB89_18
.LBB89_12:                              ; =>This Inner Loop Header: Depth=1
	global_load_dword v12, v[6:7], off
	s_waitcnt vmcnt(0)
	v_ashrrev_i32_e32 v13, 31, v12
	v_lshlrev_b64 v[10:11], 2, v[12:13]
	v_add_co_u32_e32 v10, vcc, s20, v10
	v_addc_co_u32_e32 v11, vcc, v19, v11, vcc
	global_load_dword v10, v[10:11], off
	s_and_b64 vcc, exec, s[0:1]
	s_cbranch_vccnz .LBB89_17
; %bb.13:                               ;   in Loop: Header=BB89_12 Depth=1
	global_load_dword v11, v[8:9], off
	s_waitcnt vmcnt(0)
	v_cvt_f64_i32_e32 v[14:15], v11
	v_div_scale_f64 v[20:21], s[16:17], v[14:15], v[14:15], 1.0
	v_rcp_f64_e32 v[22:23], v[20:21]
	v_div_scale_f64 v[24:25], vcc, 1.0, v[14:15], 1.0
	v_fma_f64 v[26:27], -v[20:21], v[22:23], 1.0
	v_fmac_f64_e32 v[22:23], v[22:23], v[26:27]
	v_fma_f64 v[26:27], -v[20:21], v[22:23], 1.0
	v_fmac_f64_e32 v[22:23], v[22:23], v[26:27]
	v_mul_f64 v[26:27], v[24:25], v[22:23]
	v_fma_f64 v[20:21], -v[20:21], v[26:27], v[24:25]
	v_div_fmas_f64 v[20:21], v[20:21], v[22:23], v[26:27]
	v_div_fixup_f64 v[14:15], v[20:21], v[14:15], 1.0
	s_and_b64 vcc, exec, s[2:3]
	v_cvt_f32_f64_e32 v14, v[14:15]
	s_cbranch_vccnz .LBB89_15
.LBB89_14:                              ;   in Loop: Header=BB89_12 Depth=1
	v_mul_lo_u32 v11, v13, s12
	v_mul_lo_u32 v15, v12, s13
	v_mad_u64_u32 v[12:13], s[16:17], v12, s12, 0
	v_add3_u32 v13, v13, v15, v11
	v_lshlrev_b64 v[12:13], 1, v[12:13]
	v_mov_b32_e32 v11, s11
	v_add_co_u32_e32 v12, vcc, s10, v12
	v_addc_co_u32_e32 v13, vcc, v11, v13, vcc
	global_load_ushort v11, v[12:13], off
	s_waitcnt vmcnt(0)
	v_cvt_f32_f16_e32 v11, v11
	v_mul_f32_e32 v14, v14, v11
.LBB89_15:                              ;   in Loop: Header=BB89_12 Depth=1
	s_waitcnt vmcnt(0)
	v_mul_lo_u32 v12, v10, s30
	v_ashrrev_i32_e32 v13, 31, v12
	v_lshlrev_b64 v[12:13], 1, v[12:13]
	v_add_co_u32_e32 v12, vcc, v17, v12
	v_addc_co_u32_e32 v13, vcc, v18, v13, vcc
	global_load_ushort v11, v[12:13], off
	s_and_b64 vcc, exec, s[4:5]
	s_waitcnt vmcnt(0)
	v_cvt_f32_f16_e32 v12, v11
	s_cbranch_vccnz .LBB89_11
; %bb.16:                               ;   in Loop: Header=BB89_12 Depth=1
	v_ashrrev_i32_e32 v11, 31, v10
	v_lshlrev_b64 v[10:11], 2, v[10:11]
	v_mov_b32_e32 v13, s9
	v_add_co_u32_e32 v10, vcc, s8, v10
	v_addc_co_u32_e32 v11, vcc, v13, v11, vcc
	global_load_dword v10, v[10:11], off
	s_waitcnt vmcnt(0)
	v_cvt_f32_i32_e32 v10, v10
	v_div_scale_f32 v11, s[16:17], v10, v10, v12
	v_rcp_f32_e32 v13, v11
	v_div_scale_f32 v15, vcc, v12, v10, v12
	v_fma_f32 v20, -v11, v13, 1.0
	v_fmac_f32_e32 v13, v20, v13
	v_mul_f32_e32 v20, v15, v13
	v_fma_f32 v21, -v11, v20, v15
	v_fmac_f32_e32 v20, v21, v13
	v_fma_f32 v11, -v11, v20, v15
	v_div_fmas_f32 v11, v11, v13, v20
	v_div_fixup_f32 v12, v11, v10, v12
	s_branch .LBB89_11
.LBB89_17:                              ;   in Loop: Header=BB89_12 Depth=1
	v_mov_b32_e32 v14, 0
	v_mov_b32_e32 v15, 0x3ff00000
	s_and_b64 vcc, exec, s[2:3]
	v_cvt_f32_f64_e32 v14, v[14:15]
	s_cbranch_vccz .LBB89_14
	s_branch .LBB89_15
.LBB89_18:
	s_or_b64 exec, exec, s[14:15]
.LBB89_19:
	s_or_b64 exec, exec, s[6:7]
	v_mul_lo_u32 v4, v1, s30
	v_mul_lo_u32 v6, v0, s31
	v_mad_u64_u32 v[0:1], s[0:1], v0, s30, 0
	v_add3_u32 v1, v1, v6, v4
	v_lshlrev_b64 v[0:1], 2, v[0:1]
	v_mov_b32_e32 v4, s27
	v_add_co_u32_e32 v6, vcc, s26, v0
	v_addc_co_u32_e32 v4, vcc, v4, v1, vcc
	v_lshlrev_b64 v[0:1], 2, v[2:3]
	v_add_co_u32_e32 v0, vcc, v6, v0
	v_addc_co_u32_e32 v1, vcc, v4, v1, vcc
	global_store_dword v[0:1], v5, off
.LBB89_20:
	s_endpgm
	.section	.rodata,"a",@progbits
	.p2align	6, 0x0
	.amdhsa_kernel _ZN2at6native12_GLOBAL__N_124compute_grad_weight_bagsIN3c104HalfEiEEvPKT0_PKT_S7_S7_lliS7_SA_lS7_PKlPNS_14AccumulateTypeIS8_Lb1EE4typeEl
		.amdhsa_group_segment_fixed_size 0
		.amdhsa_private_segment_fixed_size 0
		.amdhsa_kernarg_size 368
		.amdhsa_user_sgpr_count 6
		.amdhsa_user_sgpr_private_segment_buffer 1
		.amdhsa_user_sgpr_dispatch_ptr 0
		.amdhsa_user_sgpr_queue_ptr 0
		.amdhsa_user_sgpr_kernarg_segment_ptr 1
		.amdhsa_user_sgpr_dispatch_id 0
		.amdhsa_user_sgpr_flat_scratch_init 0
		.amdhsa_user_sgpr_kernarg_preload_length 0
		.amdhsa_user_sgpr_kernarg_preload_offset 0
		.amdhsa_user_sgpr_private_segment_size 0
		.amdhsa_uses_dynamic_stack 0
		.amdhsa_system_sgpr_private_segment_wavefront_offset 0
		.amdhsa_system_sgpr_workgroup_id_x 1
		.amdhsa_system_sgpr_workgroup_id_y 0
		.amdhsa_system_sgpr_workgroup_id_z 0
		.amdhsa_system_sgpr_workgroup_info 0
		.amdhsa_system_vgpr_workitem_id 0
		.amdhsa_next_free_vgpr 28
		.amdhsa_next_free_sgpr 32
		.amdhsa_accum_offset 28
		.amdhsa_reserve_vcc 1
		.amdhsa_reserve_flat_scratch 0
		.amdhsa_float_round_mode_32 0
		.amdhsa_float_round_mode_16_64 0
		.amdhsa_float_denorm_mode_32 3
		.amdhsa_float_denorm_mode_16_64 3
		.amdhsa_dx10_clamp 1
		.amdhsa_ieee_mode 1
		.amdhsa_fp16_overflow 0
		.amdhsa_tg_split 0
		.amdhsa_exception_fp_ieee_invalid_op 0
		.amdhsa_exception_fp_denorm_src 0
		.amdhsa_exception_fp_ieee_div_zero 0
		.amdhsa_exception_fp_ieee_overflow 0
		.amdhsa_exception_fp_ieee_underflow 0
		.amdhsa_exception_fp_ieee_inexact 0
		.amdhsa_exception_int_div_zero 0
	.end_amdhsa_kernel
	.section	.text._ZN2at6native12_GLOBAL__N_124compute_grad_weight_bagsIN3c104HalfEiEEvPKT0_PKT_S7_S7_lliS7_SA_lS7_PKlPNS_14AccumulateTypeIS8_Lb1EE4typeEl,"axG",@progbits,_ZN2at6native12_GLOBAL__N_124compute_grad_weight_bagsIN3c104HalfEiEEvPKT0_PKT_S7_S7_lliS7_SA_lS7_PKlPNS_14AccumulateTypeIS8_Lb1EE4typeEl,comdat
.Lfunc_end89:
	.size	_ZN2at6native12_GLOBAL__N_124compute_grad_weight_bagsIN3c104HalfEiEEvPKT0_PKT_S7_S7_lliS7_SA_lS7_PKlPNS_14AccumulateTypeIS8_Lb1EE4typeEl, .Lfunc_end89-_ZN2at6native12_GLOBAL__N_124compute_grad_weight_bagsIN3c104HalfEiEEvPKT0_PKT_S7_S7_lliS7_SA_lS7_PKlPNS_14AccumulateTypeIS8_Lb1EE4typeEl
                                        ; -- End function
	.section	.AMDGPU.csdata,"",@progbits
; Kernel info:
; codeLenInByte = 1780
; NumSgprs: 36
; NumVgprs: 28
; NumAgprs: 0
; TotalNumVgprs: 28
; ScratchSize: 0
; MemoryBound: 0
; FloatMode: 240
; IeeeMode: 1
; LDSByteSize: 0 bytes/workgroup (compile time only)
; SGPRBlocks: 4
; VGPRBlocks: 3
; NumSGPRsForWavesPerEU: 36
; NumVGPRsForWavesPerEU: 28
; AccumOffset: 28
; Occupancy: 8
; WaveLimiterHint : 1
; COMPUTE_PGM_RSRC2:SCRATCH_EN: 0
; COMPUTE_PGM_RSRC2:USER_SGPR: 6
; COMPUTE_PGM_RSRC2:TRAP_HANDLER: 0
; COMPUTE_PGM_RSRC2:TGID_X_EN: 1
; COMPUTE_PGM_RSRC2:TGID_Y_EN: 0
; COMPUTE_PGM_RSRC2:TGID_Z_EN: 0
; COMPUTE_PGM_RSRC2:TIDIG_COMP_CNT: 0
; COMPUTE_PGM_RSRC3_GFX90A:ACCUM_OFFSET: 6
; COMPUTE_PGM_RSRC3_GFX90A:TG_SPLIT: 0
	.section	.text._ZN2at6native12_GLOBAL__N_119compute_grad_weightIN3c104HalfEiEEvPKT0_PKT_S7_llS7_PKlPNS_14AccumulateTypeIS8_Lb1EE4typeEl,"axG",@progbits,_ZN2at6native12_GLOBAL__N_119compute_grad_weightIN3c104HalfEiEEvPKT0_PKT_S7_llS7_PKlPNS_14AccumulateTypeIS8_Lb1EE4typeEl,comdat
	.globl	_ZN2at6native12_GLOBAL__N_119compute_grad_weightIN3c104HalfEiEEvPKT0_PKT_S7_llS7_PKlPNS_14AccumulateTypeIS8_Lb1EE4typeEl ; -- Begin function _ZN2at6native12_GLOBAL__N_119compute_grad_weightIN3c104HalfEiEEvPKT0_PKT_S7_llS7_PKlPNS_14AccumulateTypeIS8_Lb1EE4typeEl
	.p2align	8
	.type	_ZN2at6native12_GLOBAL__N_119compute_grad_weightIN3c104HalfEiEEvPKT0_PKT_S7_llS7_PKlPNS_14AccumulateTypeIS8_Lb1EE4typeEl,@function
_ZN2at6native12_GLOBAL__N_119compute_grad_weightIN3c104HalfEiEEvPKT0_PKT_S7_llS7_PKlPNS_14AccumulateTypeIS8_Lb1EE4typeEl: ; @_ZN2at6native12_GLOBAL__N_119compute_grad_weightIN3c104HalfEiEEvPKT0_PKT_S7_llS7_PKlPNS_14AccumulateTypeIS8_Lb1EE4typeEl
; %bb.0:
	s_load_dword s0, s[4:5], 0x54
	s_load_dwordx2 s[2:3], s[4:5], 0x40
	s_load_dwordx16 s[8:23], s[4:5], 0x0
	v_mov_b32_e32 v1, 0
	v_mov_b32_e32 v2, s6
	s_waitcnt lgkmcnt(0)
	s_and_b32 s0, s0, 0xffff
	v_mad_u64_u32 v[2:3], s[0:1], s0, v2, v[0:1]
	v_or_b32_e32 v5, s3, v3
	v_mov_b32_e32 v4, v1
	v_cmp_ne_u64_e32 vcc, 0, v[4:5]
                                        ; implicit-def: $vgpr0_vgpr1
	s_and_saveexec_b64 s[0:1], vcc
	s_xor_b64 s[4:5], exec, s[0:1]
	s_cbranch_execz .LBB90_2
; %bb.1:
	s_ashr_i32 s6, s3, 31
	s_add_u32 s0, s2, s6
	s_mov_b32 s7, s6
	s_addc_u32 s1, s3, s6
	s_xor_b64 s[24:25], s[0:1], s[6:7]
	v_cvt_f32_u32_e32 v0, s24
	v_cvt_f32_u32_e32 v1, s25
	s_sub_u32 s0, 0, s24
	s_subb_u32 s1, 0, s25
	v_madmk_f32 v0, v1, 0x4f800000, v0
	v_rcp_f32_e32 v0, v0
	v_mul_f32_e32 v0, 0x5f7ffffc, v0
	v_mul_f32_e32 v1, 0x2f800000, v0
	v_trunc_f32_e32 v1, v1
	v_madmk_f32 v0, v1, 0xcf800000, v0
	v_cvt_u32_f32_e32 v1, v1
	v_cvt_u32_f32_e32 v0, v0
	v_mul_lo_u32 v4, s0, v1
	v_mul_hi_u32 v6, s0, v0
	v_mul_lo_u32 v5, s1, v0
	v_add_u32_e32 v4, v6, v4
	v_mul_lo_u32 v7, s0, v0
	v_add_u32_e32 v4, v4, v5
	v_mul_lo_u32 v6, v0, v4
	v_mul_hi_u32 v8, v0, v7
	v_mul_hi_u32 v5, v0, v4
	v_add_co_u32_e32 v6, vcc, v8, v6
	v_addc_co_u32_e32 v5, vcc, 0, v5, vcc
	v_mul_hi_u32 v9, v1, v7
	v_mul_lo_u32 v7, v1, v7
	v_add_co_u32_e32 v6, vcc, v6, v7
	v_mul_hi_u32 v8, v1, v4
	v_addc_co_u32_e32 v5, vcc, v5, v9, vcc
	v_addc_co_u32_e32 v6, vcc, 0, v8, vcc
	v_mul_lo_u32 v4, v1, v4
	v_add_co_u32_e32 v4, vcc, v5, v4
	v_addc_co_u32_e32 v5, vcc, 0, v6, vcc
	v_add_co_u32_e32 v0, vcc, v0, v4
	v_addc_co_u32_e32 v1, vcc, v1, v5, vcc
	v_mul_lo_u32 v4, s0, v1
	v_mul_hi_u32 v5, s0, v0
	v_add_u32_e32 v4, v5, v4
	v_mul_lo_u32 v5, s1, v0
	v_add_u32_e32 v4, v4, v5
	v_mul_lo_u32 v6, s0, v0
	v_mul_hi_u32 v7, v1, v6
	v_mul_lo_u32 v8, v1, v6
	v_mul_lo_u32 v10, v0, v4
	v_mul_hi_u32 v6, v0, v6
	v_mul_hi_u32 v9, v0, v4
	v_add_co_u32_e32 v6, vcc, v6, v10
	v_addc_co_u32_e32 v9, vcc, 0, v9, vcc
	v_add_co_u32_e32 v6, vcc, v6, v8
	v_mul_hi_u32 v5, v1, v4
	v_addc_co_u32_e32 v6, vcc, v9, v7, vcc
	v_addc_co_u32_e32 v5, vcc, 0, v5, vcc
	v_mul_lo_u32 v4, v1, v4
	v_add_co_u32_e32 v4, vcc, v6, v4
	v_addc_co_u32_e32 v5, vcc, 0, v5, vcc
	v_add_co_u32_e32 v4, vcc, v0, v4
	v_addc_co_u32_e32 v5, vcc, v1, v5, vcc
	v_ashrrev_i32_e32 v6, 31, v3
	v_add_co_u32_e32 v0, vcc, v2, v6
	v_addc_co_u32_e32 v1, vcc, v3, v6, vcc
	v_xor_b32_e32 v8, v0, v6
	v_xor_b32_e32 v7, v1, v6
	v_mad_u64_u32 v[0:1], s[0:1], v8, v5, 0
	v_mul_hi_u32 v9, v8, v4
	v_add_co_u32_e32 v9, vcc, v9, v0
	v_addc_co_u32_e32 v10, vcc, 0, v1, vcc
	v_mad_u64_u32 v[0:1], s[0:1], v7, v5, 0
	v_mad_u64_u32 v[4:5], s[0:1], v7, v4, 0
	v_add_co_u32_e32 v4, vcc, v9, v4
	v_addc_co_u32_e32 v4, vcc, v10, v5, vcc
	v_addc_co_u32_e32 v1, vcc, 0, v1, vcc
	v_add_co_u32_e32 v4, vcc, v4, v0
	v_addc_co_u32_e32 v5, vcc, 0, v1, vcc
	v_mul_lo_u32 v9, s25, v4
	v_mul_lo_u32 v10, s24, v5
	v_mad_u64_u32 v[0:1], s[0:1], s24, v4, 0
	v_add3_u32 v1, v1, v10, v9
	v_sub_u32_e32 v9, v7, v1
	v_mov_b32_e32 v10, s25
	v_sub_co_u32_e32 v0, vcc, v8, v0
	v_subb_co_u32_e64 v8, s[0:1], v9, v10, vcc
	v_subrev_co_u32_e64 v9, s[0:1], s24, v0
	v_subbrev_co_u32_e64 v8, s[0:1], 0, v8, s[0:1]
	v_cmp_le_u32_e64 s[0:1], s25, v8
	v_cndmask_b32_e64 v10, 0, -1, s[0:1]
	v_cmp_le_u32_e64 s[0:1], s24, v9
	v_cndmask_b32_e64 v9, 0, -1, s[0:1]
	v_cmp_eq_u32_e64 s[0:1], s25, v8
	v_cndmask_b32_e64 v8, v10, v9, s[0:1]
	v_add_co_u32_e64 v9, s[0:1], 2, v4
	v_subb_co_u32_e32 v1, vcc, v7, v1, vcc
	v_addc_co_u32_e64 v10, s[0:1], 0, v5, s[0:1]
	v_cmp_le_u32_e32 vcc, s25, v1
	v_add_co_u32_e64 v11, s[0:1], 1, v4
	v_cndmask_b32_e64 v7, 0, -1, vcc
	v_cmp_le_u32_e32 vcc, s24, v0
	v_addc_co_u32_e64 v12, s[0:1], 0, v5, s[0:1]
	v_cndmask_b32_e64 v0, 0, -1, vcc
	v_cmp_eq_u32_e32 vcc, s25, v1
	v_cmp_ne_u32_e64 s[0:1], 0, v8
	v_cndmask_b32_e32 v0, v7, v0, vcc
	v_cndmask_b32_e64 v8, v12, v10, s[0:1]
	v_cmp_ne_u32_e32 vcc, 0, v0
	v_cndmask_b32_e64 v1, v11, v9, s[0:1]
	v_cndmask_b32_e32 v0, v5, v8, vcc
	v_cndmask_b32_e32 v1, v4, v1, vcc
	v_xor_b32_e32 v4, s6, v6
	v_xor_b32_e32 v5, v0, v4
	v_xor_b32_e32 v0, v1, v4
	v_sub_co_u32_e32 v0, vcc, v0, v4
	v_subb_co_u32_e32 v1, vcc, v5, v4, vcc
.LBB90_2:
	s_or_saveexec_b64 s[0:1], s[4:5]
	s_load_dwordx2 s[4:5], s[20:21], 0x0
	s_xor_b64 exec, exec, s[0:1]
	s_cbranch_execz .LBB90_4
; %bb.3:
	v_cvt_f32_u32_e32 v0, s2
	s_sub_i32 s6, 0, s2
	v_rcp_iflag_f32_e32 v0, v0
	v_mul_f32_e32 v0, 0x4f7ffffe, v0
	v_cvt_u32_f32_e32 v0, v0
	v_mul_lo_u32 v1, s6, v0
	v_mul_hi_u32 v1, v0, v1
	v_add_u32_e32 v0, v0, v1
	v_mul_hi_u32 v0, v2, v0
	v_mul_lo_u32 v1, v0, s2
	v_sub_u32_e32 v1, v2, v1
	v_add_u32_e32 v4, 1, v0
	v_subrev_u32_e32 v5, s2, v1
	v_cmp_le_u32_e32 vcc, s2, v1
	v_cndmask_b32_e32 v1, v1, v5, vcc
	v_cndmask_b32_e32 v0, v0, v4, vcc
	v_add_u32_e32 v4, 1, v0
	v_cmp_le_u32_e32 vcc, s2, v1
	v_cndmask_b32_e32 v0, v0, v4, vcc
	v_mov_b32_e32 v1, 0
.LBB90_4:
	s_or_b64 exec, exec, s[0:1]
	v_mul_lo_u32 v6, v1, s2
	v_mul_lo_u32 v7, v0, s3
	v_mad_u64_u32 v[4:5], s[0:1], v0, s2, 0
	v_add3_u32 v5, v5, v7, v6
	v_sub_co_u32_e32 v2, vcc, v2, v4
	v_subb_co_u32_e32 v3, vcc, v3, v5, vcc
	v_cmp_gt_i64_e32 vcc, s[16:17], v[2:3]
	s_waitcnt lgkmcnt(0)
	v_cmp_gt_i64_e64 s[0:1], s[4:5], v[0:1]
	s_and_b64 s[0:1], vcc, s[0:1]
	s_and_saveexec_b64 s[2:3], s[0:1]
	s_cbranch_execz .LBB90_17
; %bb.5:
	v_lshlrev_b64 v[4:5], 2, v[0:1]
	v_mov_b32_e32 v7, s19
	v_add_co_u32_e32 v6, vcc, s18, v4
	v_addc_co_u32_e32 v7, vcc, v7, v5, vcc
	global_load_dword v4, v[6:7], off
	s_add_u32 s0, s4, -1
	s_addc_u32 s1, s5, -1
	v_cmp_ne_u64_e32 vcc, s[0:1], v[0:1]
                                        ; implicit-def: $vgpr10
	s_and_saveexec_b64 s[0:1], vcc
	s_xor_b64 s[0:1], exec, s[0:1]
	s_cbranch_execz .LBB90_7
; %bb.6:
	global_load_dword v10, v[6:7], off offset:4
.LBB90_7:
	s_andn2_saveexec_b64 s[0:1], s[0:1]
	s_cbranch_execz .LBB90_9
; %bb.8:
	s_waitcnt vmcnt(0)
	v_mov_b32_e32 v10, s14
.LBB90_9:
	s_or_b64 exec, exec, s[0:1]
	s_waitcnt vmcnt(0)
	v_cmp_lt_i32_e32 vcc, v4, v10
	v_mov_b32_e32 v5, 0
	s_and_saveexec_b64 s[2:3], vcc
	s_cbranch_execz .LBB90_16
; %bb.10:
	v_lshlrev_b64 v[6:7], 1, v[2:3]
	v_mov_b32_e32 v5, s11
	v_add_co_u32_e32 v11, vcc, s10, v6
	v_addc_co_u32_e32 v12, vcc, v5, v7, vcc
	v_ashrrev_i32_e32 v5, 31, v4
	v_lshlrev_b64 v[8:9], 2, v[4:5]
	s_cmp_lg_u64 s[12:13], 0
	v_mov_b32_e32 v5, s9
	v_add_co_u32_e32 v6, vcc, s8, v8
	v_addc_co_u32_e32 v7, vcc, v5, v9, vcc
	s_cselect_b64 s[0:1], -1, 0
	v_mov_b32_e32 v5, s13
	v_add_co_u32_e32 v8, vcc, s12, v8
	v_cndmask_b32_e64 v13, 0, 1, s[0:1]
	s_mov_b64 s[4:5], 0
	v_addc_co_u32_e32 v9, vcc, v5, v9, vcc
	v_mov_b32_e32 v5, 0
	v_cmp_ne_u32_e64 s[0:1], 1, v13
	s_branch .LBB90_13
.LBB90_11:                              ;   in Loop: Header=BB90_13 Depth=1
	global_load_dword v13, v[8:9], off
	s_waitcnt vmcnt(0)
	v_cvt_f32_i32_e32 v13, v13
	v_div_scale_f32 v15, s[6:7], v13, v13, 1.0
	v_rcp_f32_e32 v16, v15
	v_div_scale_f32 v17, vcc, 1.0, v13, 1.0
	v_fma_f32 v18, -v15, v16, 1.0
	v_fmac_f32_e32 v16, v18, v16
	v_mul_f32_e32 v18, v17, v16
	v_fma_f32 v19, -v15, v18, v17
	v_fmac_f32_e32 v18, v19, v16
	v_fma_f32 v15, -v15, v18, v17
	v_div_fmas_f32 v15, v15, v16, v18
	v_div_fixup_f32 v13, v15, v13, 1.0
.LBB90_12:                              ;   in Loop: Header=BB90_13 Depth=1
	s_waitcnt vmcnt(0)
	v_ashrrev_i32_e32 v15, 31, v14
	v_mul_lo_u32 v16, v14, s17
	v_mul_lo_u32 v17, v15, s16
	v_mad_u64_u32 v[14:15], s[6:7], v14, s16, 0
	v_add3_u32 v15, v15, v16, v17
	v_lshlrev_b64 v[14:15], 1, v[14:15]
	v_add_co_u32_e32 v14, vcc, v11, v14
	v_addc_co_u32_e32 v15, vcc, v12, v15, vcc
	global_load_ushort v14, v[14:15], off
	v_add_co_u32_e32 v6, vcc, 4, v6
	v_add_u32_e32 v4, 1, v4
	v_addc_co_u32_e32 v7, vcc, 0, v7, vcc
	v_cmp_ge_i32_e32 vcc, v4, v10
	s_or_b64 s[4:5], vcc, s[4:5]
	v_add_co_u32_e32 v8, vcc, 4, v8
	v_addc_co_u32_e32 v9, vcc, 0, v9, vcc
	s_waitcnt vmcnt(0)
	v_fma_mix_f32 v5, v13, v14, v5 op_sel_hi:[0,1,0]
	s_andn2_b64 exec, exec, s[4:5]
	s_cbranch_execz .LBB90_15
.LBB90_13:                              ; =>This Inner Loop Header: Depth=1
	global_load_dword v14, v[6:7], off
	s_and_b64 vcc, exec, s[0:1]
	s_cbranch_vccz .LBB90_11
; %bb.14:                               ;   in Loop: Header=BB90_13 Depth=1
	v_mov_b32_e32 v13, 1.0
	s_branch .LBB90_12
.LBB90_15:
	s_or_b64 exec, exec, s[4:5]
.LBB90_16:
	s_or_b64 exec, exec, s[2:3]
	v_mul_lo_u32 v4, v1, s16
	v_mul_lo_u32 v6, v0, s17
	v_mad_u64_u32 v[0:1], s[0:1], v0, s16, 0
	v_add3_u32 v1, v1, v6, v4
	v_lshlrev_b64 v[0:1], 2, v[0:1]
	v_mov_b32_e32 v4, s23
	v_add_co_u32_e32 v6, vcc, s22, v0
	v_addc_co_u32_e32 v4, vcc, v4, v1, vcc
	v_lshlrev_b64 v[0:1], 2, v[2:3]
	v_add_co_u32_e32 v0, vcc, v6, v0
	v_addc_co_u32_e32 v1, vcc, v4, v1, vcc
	global_store_dword v[0:1], v5, off
.LBB90_17:
	s_endpgm
	.section	.rodata,"a",@progbits
	.p2align	6, 0x0
	.amdhsa_kernel _ZN2at6native12_GLOBAL__N_119compute_grad_weightIN3c104HalfEiEEvPKT0_PKT_S7_llS7_PKlPNS_14AccumulateTypeIS8_Lb1EE4typeEl
		.amdhsa_group_segment_fixed_size 0
		.amdhsa_private_segment_fixed_size 0
		.amdhsa_kernarg_size 328
		.amdhsa_user_sgpr_count 6
		.amdhsa_user_sgpr_private_segment_buffer 1
		.amdhsa_user_sgpr_dispatch_ptr 0
		.amdhsa_user_sgpr_queue_ptr 0
		.amdhsa_user_sgpr_kernarg_segment_ptr 1
		.amdhsa_user_sgpr_dispatch_id 0
		.amdhsa_user_sgpr_flat_scratch_init 0
		.amdhsa_user_sgpr_kernarg_preload_length 0
		.amdhsa_user_sgpr_kernarg_preload_offset 0
		.amdhsa_user_sgpr_private_segment_size 0
		.amdhsa_uses_dynamic_stack 0
		.amdhsa_system_sgpr_private_segment_wavefront_offset 0
		.amdhsa_system_sgpr_workgroup_id_x 1
		.amdhsa_system_sgpr_workgroup_id_y 0
		.amdhsa_system_sgpr_workgroup_id_z 0
		.amdhsa_system_sgpr_workgroup_info 0
		.amdhsa_system_vgpr_workitem_id 0
		.amdhsa_next_free_vgpr 20
		.amdhsa_next_free_sgpr 26
		.amdhsa_accum_offset 20
		.amdhsa_reserve_vcc 1
		.amdhsa_reserve_flat_scratch 0
		.amdhsa_float_round_mode_32 0
		.amdhsa_float_round_mode_16_64 0
		.amdhsa_float_denorm_mode_32 3
		.amdhsa_float_denorm_mode_16_64 3
		.amdhsa_dx10_clamp 1
		.amdhsa_ieee_mode 1
		.amdhsa_fp16_overflow 0
		.amdhsa_tg_split 0
		.amdhsa_exception_fp_ieee_invalid_op 0
		.amdhsa_exception_fp_denorm_src 0
		.amdhsa_exception_fp_ieee_div_zero 0
		.amdhsa_exception_fp_ieee_overflow 0
		.amdhsa_exception_fp_ieee_underflow 0
		.amdhsa_exception_fp_ieee_inexact 0
		.amdhsa_exception_int_div_zero 0
	.end_amdhsa_kernel
	.section	.text._ZN2at6native12_GLOBAL__N_119compute_grad_weightIN3c104HalfEiEEvPKT0_PKT_S7_llS7_PKlPNS_14AccumulateTypeIS8_Lb1EE4typeEl,"axG",@progbits,_ZN2at6native12_GLOBAL__N_119compute_grad_weightIN3c104HalfEiEEvPKT0_PKT_S7_llS7_PKlPNS_14AccumulateTypeIS8_Lb1EE4typeEl,comdat
.Lfunc_end90:
	.size	_ZN2at6native12_GLOBAL__N_119compute_grad_weightIN3c104HalfEiEEvPKT0_PKT_S7_llS7_PKlPNS_14AccumulateTypeIS8_Lb1EE4typeEl, .Lfunc_end90-_ZN2at6native12_GLOBAL__N_119compute_grad_weightIN3c104HalfEiEEvPKT0_PKT_S7_llS7_PKlPNS_14AccumulateTypeIS8_Lb1EE4typeEl
                                        ; -- End function
	.section	.AMDGPU.csdata,"",@progbits
; Kernel info:
; codeLenInByte = 1448
; NumSgprs: 30
; NumVgprs: 20
; NumAgprs: 0
; TotalNumVgprs: 20
; ScratchSize: 0
; MemoryBound: 0
; FloatMode: 240
; IeeeMode: 1
; LDSByteSize: 0 bytes/workgroup (compile time only)
; SGPRBlocks: 3
; VGPRBlocks: 2
; NumSGPRsForWavesPerEU: 30
; NumVGPRsForWavesPerEU: 20
; AccumOffset: 20
; Occupancy: 8
; WaveLimiterHint : 1
; COMPUTE_PGM_RSRC2:SCRATCH_EN: 0
; COMPUTE_PGM_RSRC2:USER_SGPR: 6
; COMPUTE_PGM_RSRC2:TRAP_HANDLER: 0
; COMPUTE_PGM_RSRC2:TGID_X_EN: 1
; COMPUTE_PGM_RSRC2:TGID_Y_EN: 0
; COMPUTE_PGM_RSRC2:TGID_Z_EN: 0
; COMPUTE_PGM_RSRC2:TIDIG_COMP_CNT: 0
; COMPUTE_PGM_RSRC3_GFX90A:ACCUM_OFFSET: 4
; COMPUTE_PGM_RSRC3_GFX90A:TG_SPLIT: 0
	.section	.text._ZN2at6native12_GLOBAL__N_115sum_and_scatterIN3c104HalfEiEEvPKT0_PT_lS7_PKlPKNS_14AccumulateTypeIS8_Lb1EE4typeES7_SB_ll,"axG",@progbits,_ZN2at6native12_GLOBAL__N_115sum_and_scatterIN3c104HalfEiEEvPKT0_PT_lS7_PKlPKNS_14AccumulateTypeIS8_Lb1EE4typeES7_SB_ll,comdat
	.globl	_ZN2at6native12_GLOBAL__N_115sum_and_scatterIN3c104HalfEiEEvPKT0_PT_lS7_PKlPKNS_14AccumulateTypeIS8_Lb1EE4typeES7_SB_ll ; -- Begin function _ZN2at6native12_GLOBAL__N_115sum_and_scatterIN3c104HalfEiEEvPKT0_PT_lS7_PKlPKNS_14AccumulateTypeIS8_Lb1EE4typeES7_SB_ll
	.p2align	8
	.type	_ZN2at6native12_GLOBAL__N_115sum_and_scatterIN3c104HalfEiEEvPKT0_PT_lS7_PKlPKNS_14AccumulateTypeIS8_Lb1EE4typeES7_SB_ll,@function
_ZN2at6native12_GLOBAL__N_115sum_and_scatterIN3c104HalfEiEEvPKT0_PT_lS7_PKlPKNS_14AccumulateTypeIS8_Lb1EE4typeES7_SB_ll: ; @_ZN2at6native12_GLOBAL__N_115sum_and_scatterIN3c104HalfEiEEvPKT0_PT_lS7_PKlPKNS_14AccumulateTypeIS8_Lb1EE4typeES7_SB_ll
; %bb.0:
	s_load_dword s0, s[4:5], 0x5c
	s_load_dwordx4 s[24:27], s[4:5], 0x40
	s_load_dwordx16 s[8:23], s[4:5], 0x0
	v_mov_b32_e32 v1, 0
	v_mov_b32_e32 v2, s6
	s_waitcnt lgkmcnt(0)
	s_and_b32 s0, s0, 0xffff
	v_mad_u64_u32 v[2:3], s[0:1], s0, v2, v[0:1]
	v_or_b32_e32 v5, s27, v3
	v_mov_b32_e32 v4, v1
	v_cmp_ne_u64_e32 vcc, 0, v[4:5]
                                        ; implicit-def: $vgpr8_vgpr9
	s_and_saveexec_b64 s[0:1], vcc
	s_xor_b64 s[2:3], exec, s[0:1]
	s_cbranch_execz .LBB91_2
; %bb.1:
	s_ashr_i32 s4, s27, 31
	s_add_u32 s0, s26, s4
	s_mov_b32 s5, s4
	s_addc_u32 s1, s27, s4
	s_xor_b64 s[6:7], s[0:1], s[4:5]
	v_cvt_f32_u32_e32 v0, s6
	v_cvt_f32_u32_e32 v1, s7
	s_sub_u32 s0, 0, s6
	s_subb_u32 s1, 0, s7
	v_madmk_f32 v0, v1, 0x4f800000, v0
	v_rcp_f32_e32 v0, v0
	v_mul_f32_e32 v0, 0x5f7ffffc, v0
	v_mul_f32_e32 v1, 0x2f800000, v0
	v_trunc_f32_e32 v1, v1
	v_madmk_f32 v0, v1, 0xcf800000, v0
	v_cvt_u32_f32_e32 v1, v1
	v_cvt_u32_f32_e32 v0, v0
	v_mul_lo_u32 v4, s0, v1
	v_mul_hi_u32 v6, s0, v0
	v_mul_lo_u32 v5, s1, v0
	v_add_u32_e32 v4, v6, v4
	v_mul_lo_u32 v7, s0, v0
	v_add_u32_e32 v4, v4, v5
	v_mul_lo_u32 v6, v0, v4
	v_mul_hi_u32 v8, v0, v7
	v_mul_hi_u32 v5, v0, v4
	v_add_co_u32_e32 v6, vcc, v8, v6
	v_addc_co_u32_e32 v5, vcc, 0, v5, vcc
	v_mul_hi_u32 v9, v1, v7
	v_mul_lo_u32 v7, v1, v7
	v_add_co_u32_e32 v6, vcc, v6, v7
	v_mul_hi_u32 v8, v1, v4
	v_addc_co_u32_e32 v5, vcc, v5, v9, vcc
	v_addc_co_u32_e32 v6, vcc, 0, v8, vcc
	v_mul_lo_u32 v4, v1, v4
	v_add_co_u32_e32 v4, vcc, v5, v4
	v_addc_co_u32_e32 v5, vcc, 0, v6, vcc
	v_add_co_u32_e32 v0, vcc, v0, v4
	v_addc_co_u32_e32 v1, vcc, v1, v5, vcc
	v_mul_lo_u32 v4, s0, v1
	v_mul_hi_u32 v5, s0, v0
	v_add_u32_e32 v4, v5, v4
	v_mul_lo_u32 v5, s1, v0
	v_add_u32_e32 v4, v4, v5
	v_mul_lo_u32 v6, s0, v0
	v_mul_hi_u32 v7, v1, v6
	v_mul_lo_u32 v8, v1, v6
	v_mul_lo_u32 v10, v0, v4
	v_mul_hi_u32 v6, v0, v6
	v_mul_hi_u32 v9, v0, v4
	v_add_co_u32_e32 v6, vcc, v6, v10
	v_addc_co_u32_e32 v9, vcc, 0, v9, vcc
	v_add_co_u32_e32 v6, vcc, v6, v8
	v_mul_hi_u32 v5, v1, v4
	v_addc_co_u32_e32 v6, vcc, v9, v7, vcc
	v_addc_co_u32_e32 v5, vcc, 0, v5, vcc
	v_mul_lo_u32 v4, v1, v4
	v_add_co_u32_e32 v4, vcc, v6, v4
	v_addc_co_u32_e32 v5, vcc, 0, v5, vcc
	v_add_co_u32_e32 v4, vcc, v0, v4
	v_addc_co_u32_e32 v5, vcc, v1, v5, vcc
	v_ashrrev_i32_e32 v6, 31, v3
	v_add_co_u32_e32 v0, vcc, v2, v6
	v_addc_co_u32_e32 v1, vcc, v3, v6, vcc
	v_xor_b32_e32 v8, v0, v6
	v_xor_b32_e32 v7, v1, v6
	v_mad_u64_u32 v[0:1], s[0:1], v8, v5, 0
	v_mul_hi_u32 v9, v8, v4
	v_add_co_u32_e32 v9, vcc, v9, v0
	v_addc_co_u32_e32 v10, vcc, 0, v1, vcc
	v_mad_u64_u32 v[0:1], s[0:1], v7, v5, 0
	v_mad_u64_u32 v[4:5], s[0:1], v7, v4, 0
	v_add_co_u32_e32 v4, vcc, v9, v4
	v_addc_co_u32_e32 v4, vcc, v10, v5, vcc
	v_addc_co_u32_e32 v1, vcc, 0, v1, vcc
	v_add_co_u32_e32 v4, vcc, v4, v0
	v_addc_co_u32_e32 v5, vcc, 0, v1, vcc
	v_mul_lo_u32 v9, s7, v4
	v_mul_lo_u32 v10, s6, v5
	v_mad_u64_u32 v[0:1], s[0:1], s6, v4, 0
	v_add3_u32 v1, v1, v10, v9
	v_sub_u32_e32 v9, v7, v1
	v_mov_b32_e32 v10, s7
	v_sub_co_u32_e32 v0, vcc, v8, v0
	v_subb_co_u32_e64 v8, s[0:1], v9, v10, vcc
	v_subrev_co_u32_e64 v9, s[0:1], s6, v0
	v_subbrev_co_u32_e64 v8, s[0:1], 0, v8, s[0:1]
	v_cmp_le_u32_e64 s[0:1], s7, v8
	v_cndmask_b32_e64 v10, 0, -1, s[0:1]
	v_cmp_le_u32_e64 s[0:1], s6, v9
	v_cndmask_b32_e64 v9, 0, -1, s[0:1]
	v_cmp_eq_u32_e64 s[0:1], s7, v8
	v_cndmask_b32_e64 v8, v10, v9, s[0:1]
	v_add_co_u32_e64 v9, s[0:1], 2, v4
	v_subb_co_u32_e32 v1, vcc, v7, v1, vcc
	v_addc_co_u32_e64 v10, s[0:1], 0, v5, s[0:1]
	v_cmp_le_u32_e32 vcc, s7, v1
	v_add_co_u32_e64 v11, s[0:1], 1, v4
	v_cndmask_b32_e64 v7, 0, -1, vcc
	v_cmp_le_u32_e32 vcc, s6, v0
	v_addc_co_u32_e64 v12, s[0:1], 0, v5, s[0:1]
	v_cndmask_b32_e64 v0, 0, -1, vcc
	v_cmp_eq_u32_e32 vcc, s7, v1
	v_cmp_ne_u32_e64 s[0:1], 0, v8
	v_cndmask_b32_e32 v0, v7, v0, vcc
	v_cmp_ne_u32_e32 vcc, 0, v0
	v_cndmask_b32_e64 v1, v11, v9, s[0:1]
	v_cndmask_b32_e64 v8, v12, v10, s[0:1]
	v_cndmask_b32_e32 v1, v4, v1, vcc
	v_xor_b32_e32 v4, s4, v6
	v_cndmask_b32_e32 v0, v5, v8, vcc
	v_xor_b32_e32 v1, v1, v4
	v_xor_b32_e32 v0, v0, v4
	v_sub_co_u32_e32 v8, vcc, v1, v4
	v_subb_co_u32_e32 v9, vcc, v0, v4, vcc
.LBB91_2:
	s_or_saveexec_b64 s[0:1], s[2:3]
	s_load_dwordx2 s[2:3], s[16:17], 0x0
	s_xor_b64 exec, exec, s[0:1]
	s_cbranch_execz .LBB91_4
; %bb.3:
	v_cvt_f32_u32_e32 v0, s26
	s_sub_i32 s4, 0, s26
	v_mov_b32_e32 v9, 0
	v_rcp_iflag_f32_e32 v0, v0
	v_mul_f32_e32 v0, 0x4f7ffffe, v0
	v_cvt_u32_f32_e32 v0, v0
	v_mul_lo_u32 v1, s4, v0
	v_mul_hi_u32 v1, v0, v1
	v_add_u32_e32 v0, v0, v1
	v_mul_hi_u32 v0, v2, v0
	v_mul_lo_u32 v1, v0, s26
	v_sub_u32_e32 v1, v2, v1
	v_add_u32_e32 v4, 1, v0
	v_subrev_u32_e32 v5, s26, v1
	v_cmp_le_u32_e32 vcc, s26, v1
	v_cndmask_b32_e32 v1, v1, v5, vcc
	v_cndmask_b32_e32 v0, v0, v4, vcc
	v_add_u32_e32 v4, 1, v0
	v_cmp_le_u32_e32 vcc, s26, v1
	v_cndmask_b32_e32 v8, v0, v4, vcc
.LBB91_4:
	s_or_b64 exec, exec, s[0:1]
	v_mul_lo_u32 v0, v9, s26
	v_mul_lo_u32 v1, v8, s27
	v_mad_u64_u32 v[6:7], s[0:1], v8, s26, 0
	v_add3_u32 v7, v7, v1, v0
	v_sub_co_u32_e32 v0, vcc, v2, v6
	v_subb_co_u32_e32 v1, vcc, v3, v7, vcc
	v_cmp_gt_i64_e32 vcc, s[12:13], v[0:1]
	s_waitcnt lgkmcnt(0)
	v_cmp_gt_i64_e64 s[0:1], s[2:3], v[8:9]
	s_and_b64 s[0:1], vcc, s[0:1]
	s_and_saveexec_b64 s[4:5], s[0:1]
	s_cbranch_execz .LBB91_15
; %bb.5:
	v_lshlrev_b64 v[4:5], 2, v[8:9]
	v_mov_b32_e32 v11, s21
	v_add_co_u32_e32 v10, vcc, s20, v4
	v_addc_co_u32_e32 v11, vcc, v11, v5, vcc
	global_load_dword v12, v[10:11], off
	s_add_u32 s0, s2, -1
	s_addc_u32 s1, s3, -1
	v_cmp_ne_u64_e32 vcc, s[0:1], v[8:9]
                                        ; implicit-def: $vgpr8
	s_and_saveexec_b64 s[0:1], vcc
	s_xor_b64 s[0:1], exec, s[0:1]
	s_cbranch_execz .LBB91_7
; %bb.6:
	global_load_dword v8, v[10:11], off offset:4
.LBB91_7:
	s_andn2_saveexec_b64 s[0:1], s[0:1]
	s_cbranch_execz .LBB91_9
; %bb.8:
	s_load_dwordx2 s[2:3], s[22:23], 0x0
	s_waitcnt vmcnt(0) lgkmcnt(0)
	v_mov_b32_e32 v8, s2
.LBB91_9:
	s_or_b64 exec, exec, s[0:1]
	s_waitcnt vmcnt(0)
	v_cmp_lt_i32_e32 vcc, v12, v8
	v_mov_b32_e32 v9, 0
	s_and_saveexec_b64 s[0:1], vcc
	s_cbranch_execz .LBB91_13
; %bb.10:
	v_ashrrev_i32_e32 v9, 31, v12
	v_mul_lo_u32 v13, s13, v12
	v_mul_lo_u32 v9, s12, v9
	v_mad_u64_u32 v[10:11], s[2:3], s12, v12, 0
	v_add3_u32 v11, v11, v9, v13
	v_lshlrev_b64 v[10:11], 2, v[10:11]
	v_lshlrev_b64 v[2:3], 2, v[2:3]
	v_add_co_u32_e32 v9, vcc, v10, v2
	v_addc_co_u32_e32 v10, vcc, v11, v3, vcc
	v_lshlrev_b64 v[2:3], 2, v[6:7]
	v_sub_co_u32_e32 v2, vcc, v9, v2
	v_subb_co_u32_e32 v3, vcc, v10, v3, vcc
	v_mov_b32_e32 v6, s19
	v_add_co_u32_e32 v2, vcc, s18, v2
	s_lshl_b64 s[4:5], s[12:13], 2
	v_addc_co_u32_e32 v3, vcc, v6, v3, vcc
	s_mov_b64 s[2:3], 0
	v_mov_b32_e32 v6, 0
	v_mov_b32_e32 v7, s5
.LBB91_11:                              ; =>This Inner Loop Header: Depth=1
	global_load_dword v9, v[2:3], off
	v_add_co_u32_e32 v2, vcc, s4, v2
	v_add_u32_e32 v12, 1, v12
	v_addc_co_u32_e32 v3, vcc, v3, v7, vcc
	v_cmp_ge_i32_e32 vcc, v12, v8
	s_or_b64 s[2:3], vcc, s[2:3]
	s_waitcnt vmcnt(0)
	v_add_f32_e32 v6, v6, v9
	s_andn2_b64 exec, exec, s[2:3]
	s_cbranch_execnz .LBB91_11
; %bb.12:
	s_or_b64 exec, exec, s[2:3]
	v_cvt_f16_f32_e32 v9, v6
.LBB91_13:
	s_or_b64 exec, exec, s[0:1]
	v_mov_b32_e32 v3, s15
	v_add_co_u32_e32 v2, vcc, s14, v4
	v_addc_co_u32_e32 v3, vcc, v3, v5, vcc
	global_load_dword v2, v[2:3], off
	v_mov_b32_e32 v4, s9
	s_waitcnt vmcnt(0)
	v_ashrrev_i32_e32 v3, 31, v2
	v_lshlrev_b64 v[2:3], 2, v[2:3]
	v_add_co_u32_e32 v2, vcc, s8, v2
	v_addc_co_u32_e32 v3, vcc, v4, v3, vcc
	global_load_dword v2, v[2:3], off
	s_waitcnt vmcnt(0)
	v_ashrrev_i32_e32 v3, 31, v2
	v_cmp_ne_u64_e32 vcc, s[24:25], v[2:3]
	s_and_b64 exec, exec, vcc
	s_cbranch_execz .LBB91_15
; %bb.14:
	v_mul_lo_u32 v4, v3, s12
	v_mul_lo_u32 v5, v2, s13
	v_mad_u64_u32 v[2:3], s[0:1], v2, s12, 0
	v_add3_u32 v3, v3, v5, v4
	v_lshlrev_b64 v[2:3], 1, v[2:3]
	v_mov_b32_e32 v4, s11
	v_add_co_u32_e32 v2, vcc, s10, v2
	v_addc_co_u32_e32 v3, vcc, v4, v3, vcc
	v_lshlrev_b64 v[0:1], 1, v[0:1]
	v_add_co_u32_e32 v0, vcc, v2, v0
	v_addc_co_u32_e32 v1, vcc, v3, v1, vcc
	global_store_short v[0:1], v9, off
.LBB91_15:
	s_endpgm
	.section	.rodata,"a",@progbits
	.p2align	6, 0x0
	.amdhsa_kernel _ZN2at6native12_GLOBAL__N_115sum_and_scatterIN3c104HalfEiEEvPKT0_PT_lS7_PKlPKNS_14AccumulateTypeIS8_Lb1EE4typeES7_SB_ll
		.amdhsa_group_segment_fixed_size 0
		.amdhsa_private_segment_fixed_size 0
		.amdhsa_kernarg_size 336
		.amdhsa_user_sgpr_count 6
		.amdhsa_user_sgpr_private_segment_buffer 1
		.amdhsa_user_sgpr_dispatch_ptr 0
		.amdhsa_user_sgpr_queue_ptr 0
		.amdhsa_user_sgpr_kernarg_segment_ptr 1
		.amdhsa_user_sgpr_dispatch_id 0
		.amdhsa_user_sgpr_flat_scratch_init 0
		.amdhsa_user_sgpr_kernarg_preload_length 0
		.amdhsa_user_sgpr_kernarg_preload_offset 0
		.amdhsa_user_sgpr_private_segment_size 0
		.amdhsa_uses_dynamic_stack 0
		.amdhsa_system_sgpr_private_segment_wavefront_offset 0
		.amdhsa_system_sgpr_workgroup_id_x 1
		.amdhsa_system_sgpr_workgroup_id_y 0
		.amdhsa_system_sgpr_workgroup_id_z 0
		.amdhsa_system_sgpr_workgroup_info 0
		.amdhsa_system_vgpr_workitem_id 0
		.amdhsa_next_free_vgpr 14
		.amdhsa_next_free_sgpr 28
		.amdhsa_accum_offset 16
		.amdhsa_reserve_vcc 1
		.amdhsa_reserve_flat_scratch 0
		.amdhsa_float_round_mode_32 0
		.amdhsa_float_round_mode_16_64 0
		.amdhsa_float_denorm_mode_32 3
		.amdhsa_float_denorm_mode_16_64 3
		.amdhsa_dx10_clamp 1
		.amdhsa_ieee_mode 1
		.amdhsa_fp16_overflow 0
		.amdhsa_tg_split 0
		.amdhsa_exception_fp_ieee_invalid_op 0
		.amdhsa_exception_fp_denorm_src 0
		.amdhsa_exception_fp_ieee_div_zero 0
		.amdhsa_exception_fp_ieee_overflow 0
		.amdhsa_exception_fp_ieee_underflow 0
		.amdhsa_exception_fp_ieee_inexact 0
		.amdhsa_exception_int_div_zero 0
	.end_amdhsa_kernel
	.section	.text._ZN2at6native12_GLOBAL__N_115sum_and_scatterIN3c104HalfEiEEvPKT0_PT_lS7_PKlPKNS_14AccumulateTypeIS8_Lb1EE4typeES7_SB_ll,"axG",@progbits,_ZN2at6native12_GLOBAL__N_115sum_and_scatterIN3c104HalfEiEEvPKT0_PT_lS7_PKlPKNS_14AccumulateTypeIS8_Lb1EE4typeES7_SB_ll,comdat
.Lfunc_end91:
	.size	_ZN2at6native12_GLOBAL__N_115sum_and_scatterIN3c104HalfEiEEvPKT0_PT_lS7_PKlPKNS_14AccumulateTypeIS8_Lb1EE4typeES7_SB_ll, .Lfunc_end91-_ZN2at6native12_GLOBAL__N_115sum_and_scatterIN3c104HalfEiEEvPKT0_PT_lS7_PKlPKNS_14AccumulateTypeIS8_Lb1EE4typeES7_SB_ll
                                        ; -- End function
	.section	.AMDGPU.csdata,"",@progbits
; Kernel info:
; codeLenInByte = 1368
; NumSgprs: 32
; NumVgprs: 14
; NumAgprs: 0
; TotalNumVgprs: 14
; ScratchSize: 0
; MemoryBound: 0
; FloatMode: 240
; IeeeMode: 1
; LDSByteSize: 0 bytes/workgroup (compile time only)
; SGPRBlocks: 3
; VGPRBlocks: 1
; NumSGPRsForWavesPerEU: 32
; NumVGPRsForWavesPerEU: 14
; AccumOffset: 16
; Occupancy: 8
; WaveLimiterHint : 1
; COMPUTE_PGM_RSRC2:SCRATCH_EN: 0
; COMPUTE_PGM_RSRC2:USER_SGPR: 6
; COMPUTE_PGM_RSRC2:TRAP_HANDLER: 0
; COMPUTE_PGM_RSRC2:TGID_X_EN: 1
; COMPUTE_PGM_RSRC2:TGID_Y_EN: 0
; COMPUTE_PGM_RSRC2:TGID_Z_EN: 0
; COMPUTE_PGM_RSRC2:TIDIG_COMP_CNT: 0
; COMPUTE_PGM_RSRC3_GFX90A:ACCUM_OFFSET: 3
; COMPUTE_PGM_RSRC3_GFX90A:TG_SPLIT: 0
	.section	.text._ZN2at6native12_GLOBAL__N_137compute_grad_weight_atomic_accumulateIN3c108BFloat16EfiEEvPKT1_PKT_S7_llS7_PKlS7_S7_S7_PT0_ll,"axG",@progbits,_ZN2at6native12_GLOBAL__N_137compute_grad_weight_atomic_accumulateIN3c108BFloat16EfiEEvPKT1_PKT_S7_llS7_PKlS7_S7_S7_PT0_ll,comdat
	.globl	_ZN2at6native12_GLOBAL__N_137compute_grad_weight_atomic_accumulateIN3c108BFloat16EfiEEvPKT1_PKT_S7_llS7_PKlS7_S7_S7_PT0_ll ; -- Begin function _ZN2at6native12_GLOBAL__N_137compute_grad_weight_atomic_accumulateIN3c108BFloat16EfiEEvPKT1_PKT_S7_llS7_PKlS7_S7_S7_PT0_ll
	.p2align	8
	.type	_ZN2at6native12_GLOBAL__N_137compute_grad_weight_atomic_accumulateIN3c108BFloat16EfiEEvPKT1_PKT_S7_llS7_PKlS7_S7_S7_PT0_ll,@function
_ZN2at6native12_GLOBAL__N_137compute_grad_weight_atomic_accumulateIN3c108BFloat16EfiEEvPKT1_PKT_S7_llS7_PKlS7_S7_S7_PT0_ll: ; @_ZN2at6native12_GLOBAL__N_137compute_grad_weight_atomic_accumulateIN3c108BFloat16EfiEEvPKT1_PKT_S7_llS7_PKlS7_S7_S7_PT0_ll
; %bb.0:
	s_load_dword s0, s[4:5], 0x74
	s_load_dwordx2 s[2:3], s[4:5], 0x60
	v_mov_b32_e32 v2, 0
                                        ; implicit-def: $vgpr6_vgpr7
	s_waitcnt lgkmcnt(0)
	s_and_b32 s0, s0, 0xffff
	s_mul_i32 s6, s6, s0
	v_add_u32_e32 v0, s6, v0
	v_ashrrev_i32_e32 v1, 31, v0
	v_or_b32_e32 v3, s3, v1
	v_cmp_ne_u64_e32 vcc, 0, v[2:3]
	s_and_saveexec_b64 s[0:1], vcc
	s_xor_b64 s[6:7], exec, s[0:1]
	s_cbranch_execz .LBB92_2
; %bb.1:
	s_ashr_i32 s8, s3, 31
	s_add_u32 s0, s2, s8
	s_mov_b32 s9, s8
	s_addc_u32 s1, s3, s8
	s_xor_b64 s[10:11], s[0:1], s[8:9]
	v_cvt_f32_u32_e32 v2, s10
	v_cvt_f32_u32_e32 v3, s11
	s_sub_u32 s0, 0, s10
	s_subb_u32 s1, 0, s11
	v_madmk_f32 v2, v3, 0x4f800000, v2
	v_rcp_f32_e32 v2, v2
	v_mul_f32_e32 v2, 0x5f7ffffc, v2
	v_mul_f32_e32 v3, 0x2f800000, v2
	v_trunc_f32_e32 v3, v3
	v_madmk_f32 v2, v3, 0xcf800000, v2
	v_cvt_u32_f32_e32 v3, v3
	v_cvt_u32_f32_e32 v2, v2
	v_mul_lo_u32 v4, s0, v3
	v_mul_hi_u32 v6, s0, v2
	v_mul_lo_u32 v5, s1, v2
	v_add_u32_e32 v4, v6, v4
	v_mul_lo_u32 v7, s0, v2
	v_add_u32_e32 v4, v4, v5
	v_mul_lo_u32 v6, v2, v4
	v_mul_hi_u32 v8, v2, v7
	v_mul_hi_u32 v5, v2, v4
	v_add_co_u32_e32 v6, vcc, v8, v6
	v_addc_co_u32_e32 v5, vcc, 0, v5, vcc
	v_mul_hi_u32 v9, v3, v7
	v_mul_lo_u32 v7, v3, v7
	v_add_co_u32_e32 v6, vcc, v6, v7
	v_mul_hi_u32 v8, v3, v4
	v_addc_co_u32_e32 v5, vcc, v5, v9, vcc
	v_addc_co_u32_e32 v6, vcc, 0, v8, vcc
	v_mul_lo_u32 v4, v3, v4
	v_add_co_u32_e32 v4, vcc, v5, v4
	v_addc_co_u32_e32 v5, vcc, 0, v6, vcc
	v_add_co_u32_e32 v2, vcc, v2, v4
	v_addc_co_u32_e32 v3, vcc, v3, v5, vcc
	v_mul_lo_u32 v4, s0, v3
	v_mul_hi_u32 v5, s0, v2
	v_add_u32_e32 v4, v5, v4
	v_mul_lo_u32 v5, s1, v2
	v_add_u32_e32 v4, v4, v5
	v_mul_lo_u32 v6, s0, v2
	v_mul_hi_u32 v7, v3, v6
	v_mul_lo_u32 v8, v3, v6
	v_mul_lo_u32 v10, v2, v4
	v_mul_hi_u32 v6, v2, v6
	v_mul_hi_u32 v9, v2, v4
	v_add_co_u32_e32 v6, vcc, v6, v10
	v_addc_co_u32_e32 v9, vcc, 0, v9, vcc
	v_add_co_u32_e32 v6, vcc, v6, v8
	v_mul_hi_u32 v5, v3, v4
	v_addc_co_u32_e32 v6, vcc, v9, v7, vcc
	v_addc_co_u32_e32 v5, vcc, 0, v5, vcc
	v_mul_lo_u32 v4, v3, v4
	v_add_co_u32_e32 v4, vcc, v6, v4
	v_addc_co_u32_e32 v5, vcc, 0, v5, vcc
	v_add_co_u32_e32 v6, vcc, v2, v4
	v_addc_co_u32_e32 v7, vcc, v3, v5, vcc
	v_mov_b32_e32 v2, v1
	v_mov_b32_e32 v3, v1
	v_add_co_u32_e32 v4, vcc, v0, v2
	v_addc_co_u32_e32 v5, vcc, v1, v3, vcc
	v_xor_b32_e32 v9, v4, v2
	v_xor_b32_e32 v8, v5, v3
	v_mad_u64_u32 v[4:5], s[0:1], v9, v7, 0
	v_mul_hi_u32 v10, v9, v6
	v_add_co_u32_e32 v10, vcc, v10, v4
	v_addc_co_u32_e32 v11, vcc, 0, v5, vcc
	v_mad_u64_u32 v[4:5], s[0:1], v8, v7, 0
	v_mad_u64_u32 v[6:7], s[0:1], v8, v6, 0
	v_add_co_u32_e32 v6, vcc, v10, v6
	v_addc_co_u32_e32 v6, vcc, v11, v7, vcc
	v_addc_co_u32_e32 v5, vcc, 0, v5, vcc
	v_add_co_u32_e32 v6, vcc, v6, v4
	v_addc_co_u32_e32 v7, vcc, 0, v5, vcc
	v_mul_lo_u32 v10, s11, v6
	v_mul_lo_u32 v11, s10, v7
	v_mad_u64_u32 v[4:5], s[0:1], s10, v6, 0
	v_add3_u32 v5, v5, v11, v10
	v_sub_u32_e32 v10, v8, v5
	v_mov_b32_e32 v11, s11
	v_sub_co_u32_e32 v4, vcc, v9, v4
	v_subb_co_u32_e64 v9, s[0:1], v10, v11, vcc
	v_subrev_co_u32_e64 v10, s[0:1], s10, v4
	v_subbrev_co_u32_e64 v9, s[0:1], 0, v9, s[0:1]
	v_cmp_le_u32_e64 s[0:1], s11, v9
	v_cndmask_b32_e64 v11, 0, -1, s[0:1]
	v_cmp_le_u32_e64 s[0:1], s10, v10
	v_cndmask_b32_e64 v10, 0, -1, s[0:1]
	v_cmp_eq_u32_e64 s[0:1], s11, v9
	v_cndmask_b32_e64 v9, v11, v10, s[0:1]
	v_add_co_u32_e64 v10, s[0:1], 2, v6
	v_subb_co_u32_e32 v5, vcc, v8, v5, vcc
	v_addc_co_u32_e64 v11, s[0:1], 0, v7, s[0:1]
	v_cmp_le_u32_e32 vcc, s11, v5
	v_add_co_u32_e64 v12, s[0:1], 1, v6
	v_cndmask_b32_e64 v8, 0, -1, vcc
	v_cmp_le_u32_e32 vcc, s10, v4
	v_addc_co_u32_e64 v13, s[0:1], 0, v7, s[0:1]
	v_cndmask_b32_e64 v4, 0, -1, vcc
	v_cmp_eq_u32_e32 vcc, s11, v5
	v_cmp_ne_u32_e64 s[0:1], 0, v9
	v_cndmask_b32_e32 v4, v8, v4, vcc
	v_cmp_ne_u32_e32 vcc, 0, v4
	v_cndmask_b32_e64 v5, v12, v10, s[0:1]
	v_cndmask_b32_e64 v9, v13, v11, s[0:1]
	v_cndmask_b32_e32 v5, v6, v5, vcc
	v_xor_b32_e32 v2, s8, v2
	v_cndmask_b32_e32 v4, v7, v9, vcc
	v_xor_b32_e32 v3, s8, v3
	v_xor_b32_e32 v5, v5, v2
	;; [unrolled: 1-line block ×3, first 2 shown]
	v_sub_co_u32_e32 v6, vcc, v5, v2
	v_subb_co_u32_e32 v7, vcc, v4, v3, vcc
.LBB92_2:
	s_or_saveexec_b64 s[0:1], s[6:7]
	s_load_dwordx16 s[8:23], s[4:5], 0x0
	s_xor_b64 exec, exec, s[0:1]
	s_cbranch_execz .LBB92_4
; %bb.3:
	v_cvt_f32_u32_e32 v2, s2
	s_sub_i32 s6, 0, s2
	v_mov_b32_e32 v7, 0
	v_rcp_iflag_f32_e32 v2, v2
	v_mul_f32_e32 v2, 0x4f7ffffe, v2
	v_cvt_u32_f32_e32 v2, v2
	v_mul_lo_u32 v3, s6, v2
	v_mul_hi_u32 v3, v2, v3
	v_add_u32_e32 v2, v2, v3
	v_mul_hi_u32 v2, v0, v2
	v_mul_lo_u32 v3, v2, s2
	v_sub_u32_e32 v3, v0, v3
	v_add_u32_e32 v4, 1, v2
	v_subrev_u32_e32 v5, s2, v3
	v_cmp_le_u32_e32 vcc, s2, v3
	v_cndmask_b32_e32 v3, v3, v5, vcc
	v_cndmask_b32_e32 v2, v2, v4, vcc
	v_add_u32_e32 v4, 1, v2
	v_cmp_le_u32_e32 vcc, s2, v3
	v_cndmask_b32_e32 v6, v2, v4, vcc
.LBB92_4:
	s_or_b64 exec, exec, s[0:1]
	v_mul_lo_u32 v4, v7, s2
	v_mul_lo_u32 v5, v6, s3
	v_mad_u64_u32 v[2:3], s[0:1], v6, s2, 0
	v_add3_u32 v3, v3, v5, v4
	v_sub_co_u32_e32 v0, vcc, v0, v2
	v_subb_co_u32_e32 v1, vcc, v1, v3, vcc
	s_waitcnt lgkmcnt(0)
	v_cmp_gt_i64_e32 vcc, s[16:17], v[0:1]
	s_and_saveexec_b64 s[0:1], vcc
	s_cbranch_execz .LBB92_19
; %bb.5:
	s_load_dwordx2 s[0:1], s[20:21], 0x0
	v_ashrrev_i32_e32 v7, 31, v6
	s_waitcnt lgkmcnt(0)
	v_cmp_gt_i64_e32 vcc, s[0:1], v[6:7]
	s_and_b64 exec, exec, vcc
	s_cbranch_execz .LBB92_19
; %bb.6:
	v_lshlrev_b64 v[2:3], 2, v[6:7]
	v_mov_b32_e32 v5, s19
	v_add_co_u32_e32 v4, vcc, s18, v2
	v_addc_co_u32_e32 v5, vcc, v5, v3, vcc
	global_load_dword v4, v[4:5], off
	s_add_u32 s0, s0, -1
	s_addc_u32 s1, s1, -1
	v_cmp_ne_u64_e32 vcc, s[0:1], v[6:7]
                                        ; implicit-def: $vgpr10
	s_and_saveexec_b64 s[0:1], vcc
	s_xor_b64 s[0:1], exec, s[0:1]
	s_cbranch_execz .LBB92_8
; %bb.7:
	v_mov_b32_e32 v5, v6
	v_add_co_u32_e64 v6, vcc, 0, 0
	v_addc_co_u32_e32 v7, vcc, 1, v5, vcc
	v_ashrrev_i64 v[6:7], 30, v[6:7]
	v_mov_b32_e32 v5, s19
	v_add_co_u32_e32 v6, vcc, s18, v6
	v_addc_co_u32_e32 v7, vcc, v5, v7, vcc
	global_load_dword v10, v[6:7], off
.LBB92_8:
	s_or_saveexec_b64 s[0:1], s[0:1]
	s_load_dwordx8 s[24:31], s[4:5], 0x40
	s_xor_b64 exec, exec, s[0:1]
	s_cbranch_execz .LBB92_10
; %bb.9:
	s_waitcnt vmcnt(0)
	v_mov_b32_e32 v10, s14
.LBB92_10:
	s_or_b64 exec, exec, s[0:1]
	s_waitcnt vmcnt(0)
	v_cmp_lt_i32_e32 vcc, v4, v10
	v_mov_b32_e32 v5, 0
	s_and_saveexec_b64 s[2:3], vcc
	s_cbranch_execz .LBB92_17
; %bb.11:
	v_lshlrev_b64 v[6:7], 1, v[0:1]
	v_mov_b32_e32 v5, s11
	v_add_co_u32_e32 v11, vcc, s10, v6
	v_addc_co_u32_e32 v12, vcc, v5, v7, vcc
	v_ashrrev_i32_e32 v5, 31, v4
	v_lshlrev_b64 v[8:9], 2, v[4:5]
	s_cmp_lg_u64 s[12:13], 0
	v_mov_b32_e32 v5, s9
	v_add_co_u32_e32 v6, vcc, s8, v8
	v_addc_co_u32_e32 v7, vcc, v5, v9, vcc
	s_cselect_b64 s[0:1], -1, 0
	v_mov_b32_e32 v5, s13
	v_add_co_u32_e32 v8, vcc, s12, v8
	v_cndmask_b32_e64 v13, 0, 1, s[0:1]
	s_mov_b64 s[4:5], 0
	v_addc_co_u32_e32 v9, vcc, v5, v9, vcc
	v_mov_b32_e32 v5, 0
	v_cmp_ne_u32_e64 s[0:1], 1, v13
	s_branch .LBB92_14
.LBB92_12:                              ;   in Loop: Header=BB92_14 Depth=1
	global_load_dword v13, v[8:9], off
	s_waitcnt vmcnt(0)
	v_cvt_f32_i32_e32 v13, v13
	v_div_scale_f32 v15, s[6:7], v13, v13, 1.0
	v_rcp_f32_e32 v16, v15
	v_div_scale_f32 v17, vcc, 1.0, v13, 1.0
	v_fma_f32 v18, -v15, v16, 1.0
	v_fmac_f32_e32 v16, v18, v16
	v_mul_f32_e32 v18, v17, v16
	v_fma_f32 v19, -v15, v18, v17
	v_fmac_f32_e32 v18, v19, v16
	v_fma_f32 v15, -v15, v18, v17
	v_div_fmas_f32 v15, v15, v16, v18
	v_div_fixup_f32 v13, v15, v13, 1.0
.LBB92_13:                              ;   in Loop: Header=BB92_14 Depth=1
	s_waitcnt vmcnt(0)
	v_ashrrev_i32_e32 v15, 31, v14
	v_mul_lo_u32 v16, v14, s17
	v_mul_lo_u32 v17, v15, s16
	v_mad_u64_u32 v[14:15], s[6:7], v14, s16, 0
	v_add3_u32 v15, v15, v16, v17
	v_lshlrev_b64 v[14:15], 1, v[14:15]
	v_add_co_u32_e32 v14, vcc, v11, v14
	v_addc_co_u32_e32 v15, vcc, v12, v15, vcc
	global_load_ushort v14, v[14:15], off
	v_add_co_u32_e32 v6, vcc, 4, v6
	v_add_u32_e32 v4, 1, v4
	v_addc_co_u32_e32 v7, vcc, 0, v7, vcc
	v_cmp_ge_i32_e32 vcc, v4, v10
	s_or_b64 s[4:5], vcc, s[4:5]
	v_add_co_u32_e32 v8, vcc, 4, v8
	v_addc_co_u32_e32 v9, vcc, 0, v9, vcc
	s_waitcnt vmcnt(0)
	v_lshlrev_b32_e32 v14, 16, v14
	v_fmac_f32_e32 v5, v13, v14
	s_andn2_b64 exec, exec, s[4:5]
	s_cbranch_execz .LBB92_16
.LBB92_14:                              ; =>This Inner Loop Header: Depth=1
	global_load_dword v14, v[6:7], off
	s_and_b64 vcc, exec, s[0:1]
	s_cbranch_vccz .LBB92_12
; %bb.15:                               ;   in Loop: Header=BB92_14 Depth=1
	v_mov_b32_e32 v13, 1.0
	s_branch .LBB92_13
.LBB92_16:
	s_or_b64 exec, exec, s[4:5]
.LBB92_17:
	s_or_b64 exec, exec, s[2:3]
	s_waitcnt lgkmcnt(0)
	v_mov_b32_e32 v4, s25
	v_add_co_u32_e32 v2, vcc, s24, v2
	v_addc_co_u32_e32 v3, vcc, v4, v3, vcc
	global_load_dword v2, v[2:3], off
	v_mov_b32_e32 v4, s27
	s_waitcnt vmcnt(0)
	v_ashrrev_i32_e32 v3, 31, v2
	v_lshlrev_b64 v[2:3], 2, v[2:3]
	v_add_co_u32_e32 v2, vcc, s26, v2
	v_addc_co_u32_e32 v3, vcc, v4, v3, vcc
	global_load_dword v2, v[2:3], off
	v_mov_b32_e32 v4, s23
	s_waitcnt vmcnt(0)
	v_ashrrev_i32_e32 v3, 31, v2
	v_lshlrev_b64 v[2:3], 2, v[2:3]
	v_add_co_u32_e32 v2, vcc, s22, v2
	v_addc_co_u32_e32 v3, vcc, v4, v3, vcc
	global_load_dword v2, v[2:3], off
	s_waitcnt vmcnt(0)
	v_ashrrev_i32_e32 v3, 31, v2
	v_cmp_ne_u64_e32 vcc, s[30:31], v[2:3]
	s_and_b64 exec, exec, vcc
	s_cbranch_execz .LBB92_19
; %bb.18:
	v_mul_lo_u32 v4, v3, s16
	v_mul_lo_u32 v6, v2, s17
	v_mad_u64_u32 v[2:3], s[0:1], v2, s16, 0
	v_add3_u32 v3, v3, v6, v4
	v_lshlrev_b64 v[2:3], 2, v[2:3]
	v_mov_b32_e32 v4, s29
	v_add_co_u32_e32 v2, vcc, s28, v2
	v_addc_co_u32_e32 v3, vcc, v4, v3, vcc
	v_lshlrev_b64 v[0:1], 2, v[0:1]
	v_add_co_u32_e32 v0, vcc, v2, v0
	v_addc_co_u32_e32 v1, vcc, v3, v1, vcc
	global_atomic_add_f32 v[0:1], v5, off
.LBB92_19:
	s_endpgm
	.section	.rodata,"a",@progbits
	.p2align	6, 0x0
	.amdhsa_kernel _ZN2at6native12_GLOBAL__N_137compute_grad_weight_atomic_accumulateIN3c108BFloat16EfiEEvPKT1_PKT_S7_llS7_PKlS7_S7_S7_PT0_ll
		.amdhsa_group_segment_fixed_size 0
		.amdhsa_private_segment_fixed_size 0
		.amdhsa_kernarg_size 360
		.amdhsa_user_sgpr_count 6
		.amdhsa_user_sgpr_private_segment_buffer 1
		.amdhsa_user_sgpr_dispatch_ptr 0
		.amdhsa_user_sgpr_queue_ptr 0
		.amdhsa_user_sgpr_kernarg_segment_ptr 1
		.amdhsa_user_sgpr_dispatch_id 0
		.amdhsa_user_sgpr_flat_scratch_init 0
		.amdhsa_user_sgpr_kernarg_preload_length 0
		.amdhsa_user_sgpr_kernarg_preload_offset 0
		.amdhsa_user_sgpr_private_segment_size 0
		.amdhsa_uses_dynamic_stack 0
		.amdhsa_system_sgpr_private_segment_wavefront_offset 0
		.amdhsa_system_sgpr_workgroup_id_x 1
		.amdhsa_system_sgpr_workgroup_id_y 0
		.amdhsa_system_sgpr_workgroup_id_z 0
		.amdhsa_system_sgpr_workgroup_info 0
		.amdhsa_system_vgpr_workitem_id 0
		.amdhsa_next_free_vgpr 20
		.amdhsa_next_free_sgpr 32
		.amdhsa_accum_offset 20
		.amdhsa_reserve_vcc 1
		.amdhsa_reserve_flat_scratch 0
		.amdhsa_float_round_mode_32 0
		.amdhsa_float_round_mode_16_64 0
		.amdhsa_float_denorm_mode_32 3
		.amdhsa_float_denorm_mode_16_64 3
		.amdhsa_dx10_clamp 1
		.amdhsa_ieee_mode 1
		.amdhsa_fp16_overflow 0
		.amdhsa_tg_split 0
		.amdhsa_exception_fp_ieee_invalid_op 0
		.amdhsa_exception_fp_denorm_src 0
		.amdhsa_exception_fp_ieee_div_zero 0
		.amdhsa_exception_fp_ieee_overflow 0
		.amdhsa_exception_fp_ieee_underflow 0
		.amdhsa_exception_fp_ieee_inexact 0
		.amdhsa_exception_int_div_zero 0
	.end_amdhsa_kernel
	.section	.text._ZN2at6native12_GLOBAL__N_137compute_grad_weight_atomic_accumulateIN3c108BFloat16EfiEEvPKT1_PKT_S7_llS7_PKlS7_S7_S7_PT0_ll,"axG",@progbits,_ZN2at6native12_GLOBAL__N_137compute_grad_weight_atomic_accumulateIN3c108BFloat16EfiEEvPKT1_PKT_S7_llS7_PKlS7_S7_S7_PT0_ll,comdat
.Lfunc_end92:
	.size	_ZN2at6native12_GLOBAL__N_137compute_grad_weight_atomic_accumulateIN3c108BFloat16EfiEEvPKT1_PKT_S7_llS7_PKlS7_S7_S7_PT0_ll, .Lfunc_end92-_ZN2at6native12_GLOBAL__N_137compute_grad_weight_atomic_accumulateIN3c108BFloat16EfiEEvPKT1_PKT_S7_llS7_PKlS7_S7_S7_PT0_ll
                                        ; -- End function
	.section	.AMDGPU.csdata,"",@progbits
; Kernel info:
; codeLenInByte = 1624
; NumSgprs: 36
; NumVgprs: 20
; NumAgprs: 0
; TotalNumVgprs: 20
; ScratchSize: 0
; MemoryBound: 0
; FloatMode: 240
; IeeeMode: 1
; LDSByteSize: 0 bytes/workgroup (compile time only)
; SGPRBlocks: 4
; VGPRBlocks: 2
; NumSGPRsForWavesPerEU: 36
; NumVGPRsForWavesPerEU: 20
; AccumOffset: 20
; Occupancy: 8
; WaveLimiterHint : 1
; COMPUTE_PGM_RSRC2:SCRATCH_EN: 0
; COMPUTE_PGM_RSRC2:USER_SGPR: 6
; COMPUTE_PGM_RSRC2:TRAP_HANDLER: 0
; COMPUTE_PGM_RSRC2:TGID_X_EN: 1
; COMPUTE_PGM_RSRC2:TGID_Y_EN: 0
; COMPUTE_PGM_RSRC2:TGID_Z_EN: 0
; COMPUTE_PGM_RSRC2:TIDIG_COMP_CNT: 0
; COMPUTE_PGM_RSRC3_GFX90A:ACCUM_OFFSET: 4
; COMPUTE_PGM_RSRC3_GFX90A:TG_SPLIT: 0
	.section	.text._ZN2at6native12_GLOBAL__N_124compute_grad_weight_bagsIN3c108BFloat16EiEEvPKT0_PKT_S7_S7_lliS7_SA_lS7_PKlPNS_14AccumulateTypeIS8_Lb1EE4typeEl,"axG",@progbits,_ZN2at6native12_GLOBAL__N_124compute_grad_weight_bagsIN3c108BFloat16EiEEvPKT0_PKT_S7_S7_lliS7_SA_lS7_PKlPNS_14AccumulateTypeIS8_Lb1EE4typeEl,comdat
	.globl	_ZN2at6native12_GLOBAL__N_124compute_grad_weight_bagsIN3c108BFloat16EiEEvPKT0_PKT_S7_S7_lliS7_SA_lS7_PKlPNS_14AccumulateTypeIS8_Lb1EE4typeEl ; -- Begin function _ZN2at6native12_GLOBAL__N_124compute_grad_weight_bagsIN3c108BFloat16EiEEvPKT0_PKT_S7_S7_lliS7_SA_lS7_PKlPNS_14AccumulateTypeIS8_Lb1EE4typeEl
	.p2align	8
	.type	_ZN2at6native12_GLOBAL__N_124compute_grad_weight_bagsIN3c108BFloat16EiEEvPKT0_PKT_S7_S7_lliS7_SA_lS7_PKlPNS_14AccumulateTypeIS8_Lb1EE4typeEl,@function
_ZN2at6native12_GLOBAL__N_124compute_grad_weight_bagsIN3c108BFloat16EiEEvPKT0_PKT_S7_S7_lliS7_SA_lS7_PKlPNS_14AccumulateTypeIS8_Lb1EE4typeEl: ; @_ZN2at6native12_GLOBAL__N_124compute_grad_weight_bagsIN3c108BFloat16EiEEvPKT0_PKT_S7_S7_lliS7_SA_lS7_PKlPNS_14AccumulateTypeIS8_Lb1EE4typeEl
; %bb.0:
	s_load_dword s0, s[4:5], 0x7c
	s_load_dwordx4 s[24:27], s[4:5], 0x58
	s_load_dwordx2 s[2:3], s[4:5], 0x68
	v_mov_b32_e32 v1, 0
	v_mov_b32_e32 v2, s6
	s_waitcnt lgkmcnt(0)
	s_and_b32 s0, s0, 0xffff
	v_mad_u64_u32 v[2:3], s[0:1], s0, v2, v[0:1]
	v_or_b32_e32 v5, s3, v3
	v_mov_b32_e32 v4, v1
	v_cmp_ne_u64_e32 vcc, 0, v[4:5]
                                        ; implicit-def: $vgpr0_vgpr1
	s_and_saveexec_b64 s[0:1], vcc
	s_xor_b64 s[6:7], exec, s[0:1]
	s_cbranch_execz .LBB93_2
; %bb.1:
	s_ashr_i32 s8, s3, 31
	s_add_u32 s0, s2, s8
	s_mov_b32 s9, s8
	s_addc_u32 s1, s3, s8
	s_xor_b64 s[10:11], s[0:1], s[8:9]
	v_cvt_f32_u32_e32 v0, s10
	v_cvt_f32_u32_e32 v1, s11
	s_sub_u32 s0, 0, s10
	s_subb_u32 s1, 0, s11
	v_madmk_f32 v0, v1, 0x4f800000, v0
	v_rcp_f32_e32 v0, v0
	v_mul_f32_e32 v0, 0x5f7ffffc, v0
	v_mul_f32_e32 v1, 0x2f800000, v0
	v_trunc_f32_e32 v1, v1
	v_madmk_f32 v0, v1, 0xcf800000, v0
	v_cvt_u32_f32_e32 v1, v1
	v_cvt_u32_f32_e32 v0, v0
	v_mul_lo_u32 v4, s0, v1
	v_mul_hi_u32 v6, s0, v0
	v_mul_lo_u32 v5, s1, v0
	v_add_u32_e32 v4, v6, v4
	v_mul_lo_u32 v7, s0, v0
	v_add_u32_e32 v4, v4, v5
	v_mul_lo_u32 v6, v0, v4
	v_mul_hi_u32 v8, v0, v7
	v_mul_hi_u32 v5, v0, v4
	v_add_co_u32_e32 v6, vcc, v8, v6
	v_addc_co_u32_e32 v5, vcc, 0, v5, vcc
	v_mul_hi_u32 v9, v1, v7
	v_mul_lo_u32 v7, v1, v7
	v_add_co_u32_e32 v6, vcc, v6, v7
	v_mul_hi_u32 v8, v1, v4
	v_addc_co_u32_e32 v5, vcc, v5, v9, vcc
	v_addc_co_u32_e32 v6, vcc, 0, v8, vcc
	v_mul_lo_u32 v4, v1, v4
	v_add_co_u32_e32 v4, vcc, v5, v4
	v_addc_co_u32_e32 v5, vcc, 0, v6, vcc
	v_add_co_u32_e32 v0, vcc, v0, v4
	v_addc_co_u32_e32 v1, vcc, v1, v5, vcc
	v_mul_lo_u32 v4, s0, v1
	v_mul_hi_u32 v5, s0, v0
	v_add_u32_e32 v4, v5, v4
	v_mul_lo_u32 v5, s1, v0
	v_add_u32_e32 v4, v4, v5
	v_mul_lo_u32 v6, s0, v0
	v_mul_hi_u32 v7, v1, v6
	v_mul_lo_u32 v8, v1, v6
	v_mul_lo_u32 v10, v0, v4
	v_mul_hi_u32 v6, v0, v6
	v_mul_hi_u32 v9, v0, v4
	v_add_co_u32_e32 v6, vcc, v6, v10
	v_addc_co_u32_e32 v9, vcc, 0, v9, vcc
	v_add_co_u32_e32 v6, vcc, v6, v8
	v_mul_hi_u32 v5, v1, v4
	v_addc_co_u32_e32 v6, vcc, v9, v7, vcc
	v_addc_co_u32_e32 v5, vcc, 0, v5, vcc
	v_mul_lo_u32 v4, v1, v4
	v_add_co_u32_e32 v4, vcc, v6, v4
	v_addc_co_u32_e32 v5, vcc, 0, v5, vcc
	v_add_co_u32_e32 v4, vcc, v0, v4
	v_addc_co_u32_e32 v5, vcc, v1, v5, vcc
	v_ashrrev_i32_e32 v6, 31, v3
	v_add_co_u32_e32 v0, vcc, v2, v6
	v_addc_co_u32_e32 v1, vcc, v3, v6, vcc
	v_xor_b32_e32 v8, v0, v6
	v_xor_b32_e32 v7, v1, v6
	v_mad_u64_u32 v[0:1], s[0:1], v8, v5, 0
	v_mul_hi_u32 v9, v8, v4
	v_add_co_u32_e32 v9, vcc, v9, v0
	v_addc_co_u32_e32 v10, vcc, 0, v1, vcc
	v_mad_u64_u32 v[0:1], s[0:1], v7, v5, 0
	v_mad_u64_u32 v[4:5], s[0:1], v7, v4, 0
	v_add_co_u32_e32 v4, vcc, v9, v4
	v_addc_co_u32_e32 v4, vcc, v10, v5, vcc
	v_addc_co_u32_e32 v1, vcc, 0, v1, vcc
	v_add_co_u32_e32 v4, vcc, v4, v0
	v_addc_co_u32_e32 v5, vcc, 0, v1, vcc
	v_mul_lo_u32 v9, s11, v4
	v_mul_lo_u32 v10, s10, v5
	v_mad_u64_u32 v[0:1], s[0:1], s10, v4, 0
	v_add3_u32 v1, v1, v10, v9
	v_sub_u32_e32 v9, v7, v1
	v_mov_b32_e32 v10, s11
	v_sub_co_u32_e32 v0, vcc, v8, v0
	v_subb_co_u32_e64 v8, s[0:1], v9, v10, vcc
	v_subrev_co_u32_e64 v9, s[0:1], s10, v0
	v_subbrev_co_u32_e64 v8, s[0:1], 0, v8, s[0:1]
	v_cmp_le_u32_e64 s[0:1], s11, v8
	v_cndmask_b32_e64 v10, 0, -1, s[0:1]
	v_cmp_le_u32_e64 s[0:1], s10, v9
	v_cndmask_b32_e64 v9, 0, -1, s[0:1]
	v_cmp_eq_u32_e64 s[0:1], s11, v8
	v_cndmask_b32_e64 v8, v10, v9, s[0:1]
	v_add_co_u32_e64 v9, s[0:1], 2, v4
	v_subb_co_u32_e32 v1, vcc, v7, v1, vcc
	v_addc_co_u32_e64 v10, s[0:1], 0, v5, s[0:1]
	v_cmp_le_u32_e32 vcc, s11, v1
	v_add_co_u32_e64 v11, s[0:1], 1, v4
	v_cndmask_b32_e64 v7, 0, -1, vcc
	v_cmp_le_u32_e32 vcc, s10, v0
	v_addc_co_u32_e64 v12, s[0:1], 0, v5, s[0:1]
	v_cndmask_b32_e64 v0, 0, -1, vcc
	v_cmp_eq_u32_e32 vcc, s11, v1
	v_cmp_ne_u32_e64 s[0:1], 0, v8
	v_cndmask_b32_e32 v0, v7, v0, vcc
	v_cndmask_b32_e64 v8, v12, v10, s[0:1]
	v_cmp_ne_u32_e32 vcc, 0, v0
	v_cndmask_b32_e64 v1, v11, v9, s[0:1]
	v_cndmask_b32_e32 v0, v5, v8, vcc
	v_cndmask_b32_e32 v1, v4, v1, vcc
	v_xor_b32_e32 v4, s8, v6
	v_xor_b32_e32 v5, v0, v4
	;; [unrolled: 1-line block ×3, first 2 shown]
	v_sub_co_u32_e32 v0, vcc, v0, v4
	v_subb_co_u32_e32 v1, vcc, v5, v4, vcc
.LBB93_2:
	s_or_saveexec_b64 s[0:1], s[6:7]
	s_load_dwordx2 s[6:7], s[24:25], 0x0
	s_xor_b64 exec, exec, s[0:1]
	s_cbranch_execz .LBB93_4
; %bb.3:
	v_cvt_f32_u32_e32 v0, s2
	s_sub_i32 s8, 0, s2
	v_rcp_iflag_f32_e32 v0, v0
	v_mul_f32_e32 v0, 0x4f7ffffe, v0
	v_cvt_u32_f32_e32 v0, v0
	v_mul_lo_u32 v1, s8, v0
	v_mul_hi_u32 v1, v0, v1
	v_add_u32_e32 v0, v0, v1
	v_mul_hi_u32 v0, v2, v0
	v_mul_lo_u32 v1, v0, s2
	v_sub_u32_e32 v1, v2, v1
	v_add_u32_e32 v4, 1, v0
	v_subrev_u32_e32 v5, s2, v1
	v_cmp_le_u32_e32 vcc, s2, v1
	v_cndmask_b32_e32 v1, v1, v5, vcc
	v_cndmask_b32_e32 v0, v0, v4, vcc
	v_add_u32_e32 v4, 1, v0
	v_cmp_le_u32_e32 vcc, s2, v1
	v_cndmask_b32_e32 v0, v0, v4, vcc
	v_mov_b32_e32 v1, 0
.LBB93_4:
	s_or_b64 exec, exec, s[0:1]
	s_load_dwordx4 s[28:31], s[4:5], 0x20
	v_mul_lo_u32 v6, v1, s2
	v_mul_lo_u32 v7, v0, s3
	v_mad_u64_u32 v[4:5], s[0:1], v0, s2, 0
	v_add3_u32 v5, v5, v7, v6
	v_sub_co_u32_e32 v2, vcc, v2, v4
	v_subb_co_u32_e32 v3, vcc, v3, v5, vcc
	s_waitcnt lgkmcnt(0)
	v_cmp_gt_i64_e32 vcc, s[30:31], v[2:3]
	v_cmp_gt_i64_e64 s[0:1], s[6:7], v[0:1]
	s_and_b64 s[0:1], vcc, s[0:1]
	s_and_saveexec_b64 s[2:3], s[0:1]
	s_cbranch_execz .LBB93_20
; %bb.5:
	s_load_dwordx8 s[8:15], s[4:5], 0x38
	v_lshlrev_b64 v[4:5], 2, v[0:1]
	s_load_dwordx8 s[16:23], s[4:5], 0x0
	s_add_u32 s0, s6, -1
	s_addc_u32 s1, s7, -1
	s_waitcnt lgkmcnt(0)
	v_mov_b32_e32 v7, s15
	v_add_co_u32_e32 v6, vcc, s14, v4
	v_addc_co_u32_e32 v7, vcc, v7, v5, vcc
	global_load_dword v4, v[6:7], off
	v_cmp_ne_u64_e32 vcc, s[0:1], v[0:1]
                                        ; implicit-def: $vgpr16
	s_and_saveexec_b64 s[0:1], vcc
	s_xor_b64 s[0:1], exec, s[0:1]
	s_cbranch_execz .LBB93_7
; %bb.6:
	global_load_dword v16, v[6:7], off offset:4
.LBB93_7:
	s_andn2_saveexec_b64 s[0:1], s[0:1]
	s_cbranch_execz .LBB93_9
; %bb.8:
	s_waitcnt vmcnt(0)
	v_mov_b32_e32 v16, s28
.LBB93_9:
	s_or_b64 exec, exec, s[0:1]
	s_waitcnt vmcnt(0)
	v_cmp_lt_i32_e32 vcc, v4, v16
	v_mov_b32_e32 v5, 0
	s_and_saveexec_b64 s[6:7], vcc
	s_cbranch_execz .LBB93_19
; %bb.10:
	s_load_dword s4, s[4:5], 0x30
	v_lshlrev_b64 v[6:7], 1, v[2:3]
	v_mov_b32_e32 v5, s19
	v_add_co_u32_e32 v17, vcc, s18, v6
	s_cmp_lg_u64 s[22:23], 0
	v_addc_co_u32_e32 v18, vcc, v5, v7, vcc
	v_ashrrev_i32_e32 v5, 31, v4
	s_cselect_b64 s[0:1], -1, 0
	s_cmp_lg_u64 s[10:11], 0
	v_lshlrev_b64 v[8:9], 2, v[4:5]
	s_cselect_b64 s[2:3], -1, 0
	s_waitcnt lgkmcnt(0)
	s_cmp_lg_u32 s4, 0
	v_mov_b32_e32 v5, s17
	v_add_co_u32_e32 v6, vcc, s16, v8
	v_cndmask_b32_e64 v10, 0, 1, s[0:1]
	v_addc_co_u32_e32 v7, vcc, v5, v9, vcc
	v_cmp_ne_u32_e64 s[0:1], 1, v10
	v_cndmask_b32_e64 v10, 0, 1, s[2:3]
	s_cselect_b64 s[4:5], -1, 0
	v_mov_b32_e32 v5, s23
	v_add_co_u32_e32 v8, vcc, s22, v8
	v_cmp_ne_u32_e64 s[2:3], 1, v10
	v_cndmask_b32_e64 v10, 0, 1, s[4:5]
	s_mov_b64 s[14:15], 0
	v_addc_co_u32_e32 v9, vcc, v5, v9, vcc
	v_mov_b32_e32 v5, 0
	v_mov_b32_e32 v19, s21
	v_cmp_ne_u32_e64 s[4:5], 1, v10
	s_branch .LBB93_12
.LBB93_11:                              ;   in Loop: Header=BB93_12 Depth=1
	v_add_co_u32_e32 v6, vcc, 4, v6
	v_add_u32_e32 v4, 1, v4
	v_addc_co_u32_e32 v7, vcc, 0, v7, vcc
	v_cmp_ge_i32_e32 vcc, v4, v16
	s_or_b64 s[14:15], vcc, s[14:15]
	v_add_co_u32_e32 v8, vcc, 4, v8
	v_fmac_f32_e32 v5, v14, v12
	v_addc_co_u32_e32 v9, vcc, 0, v9, vcc
	s_andn2_b64 exec, exec, s[14:15]
	s_cbranch_execz .LBB93_18
.LBB93_12:                              ; =>This Inner Loop Header: Depth=1
	global_load_dword v12, v[6:7], off
	s_waitcnt vmcnt(0)
	v_ashrrev_i32_e32 v13, 31, v12
	v_lshlrev_b64 v[10:11], 2, v[12:13]
	v_add_co_u32_e32 v10, vcc, s20, v10
	v_addc_co_u32_e32 v11, vcc, v19, v11, vcc
	global_load_dword v10, v[10:11], off
	s_and_b64 vcc, exec, s[0:1]
	s_cbranch_vccnz .LBB93_17
; %bb.13:                               ;   in Loop: Header=BB93_12 Depth=1
	global_load_dword v11, v[8:9], off
	s_waitcnt vmcnt(0)
	v_cvt_f64_i32_e32 v[14:15], v11
	v_div_scale_f64 v[20:21], s[16:17], v[14:15], v[14:15], 1.0
	v_rcp_f64_e32 v[22:23], v[20:21]
	v_div_scale_f64 v[24:25], vcc, 1.0, v[14:15], 1.0
	v_fma_f64 v[26:27], -v[20:21], v[22:23], 1.0
	v_fmac_f64_e32 v[22:23], v[22:23], v[26:27]
	v_fma_f64 v[26:27], -v[20:21], v[22:23], 1.0
	v_fmac_f64_e32 v[22:23], v[22:23], v[26:27]
	v_mul_f64 v[26:27], v[24:25], v[22:23]
	v_fma_f64 v[20:21], -v[20:21], v[26:27], v[24:25]
	v_div_fmas_f64 v[20:21], v[20:21], v[22:23], v[26:27]
	v_div_fixup_f64 v[14:15], v[20:21], v[14:15], 1.0
	s_and_b64 vcc, exec, s[2:3]
	v_cvt_f32_f64_e32 v14, v[14:15]
	s_cbranch_vccnz .LBB93_15
.LBB93_14:                              ;   in Loop: Header=BB93_12 Depth=1
	v_mul_lo_u32 v11, v13, s12
	v_mul_lo_u32 v15, v12, s13
	v_mad_u64_u32 v[12:13], s[16:17], v12, s12, 0
	v_add3_u32 v13, v13, v15, v11
	v_lshlrev_b64 v[12:13], 1, v[12:13]
	v_mov_b32_e32 v11, s11
	v_add_co_u32_e32 v12, vcc, s10, v12
	v_addc_co_u32_e32 v13, vcc, v11, v13, vcc
	global_load_ushort v11, v[12:13], off
	s_waitcnt vmcnt(0)
	v_lshlrev_b32_e32 v11, 16, v11
	v_mul_f32_e32 v14, v14, v11
.LBB93_15:                              ;   in Loop: Header=BB93_12 Depth=1
	s_waitcnt vmcnt(0)
	v_mul_lo_u32 v12, v10, s30
	v_ashrrev_i32_e32 v13, 31, v12
	v_lshlrev_b64 v[12:13], 1, v[12:13]
	v_add_co_u32_e32 v12, vcc, v17, v12
	v_addc_co_u32_e32 v13, vcc, v18, v13, vcc
	global_load_ushort v11, v[12:13], off
	s_and_b64 vcc, exec, s[4:5]
	s_waitcnt vmcnt(0)
	v_lshlrev_b32_e32 v12, 16, v11
	s_cbranch_vccnz .LBB93_11
; %bb.16:                               ;   in Loop: Header=BB93_12 Depth=1
	v_ashrrev_i32_e32 v11, 31, v10
	v_lshlrev_b64 v[10:11], 2, v[10:11]
	v_mov_b32_e32 v13, s9
	v_add_co_u32_e32 v10, vcc, s8, v10
	v_addc_co_u32_e32 v11, vcc, v13, v11, vcc
	global_load_dword v10, v[10:11], off
	s_waitcnt vmcnt(0)
	v_cvt_f32_i32_e32 v10, v10
	v_div_scale_f32 v11, s[16:17], v10, v10, v12
	v_rcp_f32_e32 v13, v11
	v_div_scale_f32 v15, vcc, v12, v10, v12
	v_fma_f32 v20, -v11, v13, 1.0
	v_fmac_f32_e32 v13, v20, v13
	v_mul_f32_e32 v20, v15, v13
	v_fma_f32 v21, -v11, v20, v15
	v_fmac_f32_e32 v20, v21, v13
	v_fma_f32 v11, -v11, v20, v15
	v_div_fmas_f32 v11, v11, v13, v20
	v_div_fixup_f32 v12, v11, v10, v12
	s_branch .LBB93_11
.LBB93_17:                              ;   in Loop: Header=BB93_12 Depth=1
	v_mov_b32_e32 v14, 0
	v_mov_b32_e32 v15, 0x3ff00000
	s_and_b64 vcc, exec, s[2:3]
	v_cvt_f32_f64_e32 v14, v[14:15]
	s_cbranch_vccz .LBB93_14
	s_branch .LBB93_15
.LBB93_18:
	s_or_b64 exec, exec, s[14:15]
.LBB93_19:
	s_or_b64 exec, exec, s[6:7]
	v_mul_lo_u32 v4, v1, s30
	v_mul_lo_u32 v6, v0, s31
	v_mad_u64_u32 v[0:1], s[0:1], v0, s30, 0
	v_add3_u32 v1, v1, v6, v4
	v_lshlrev_b64 v[0:1], 2, v[0:1]
	v_mov_b32_e32 v4, s27
	v_add_co_u32_e32 v6, vcc, s26, v0
	v_addc_co_u32_e32 v4, vcc, v4, v1, vcc
	v_lshlrev_b64 v[0:1], 2, v[2:3]
	v_add_co_u32_e32 v0, vcc, v6, v0
	v_addc_co_u32_e32 v1, vcc, v4, v1, vcc
	global_store_dword v[0:1], v5, off
.LBB93_20:
	s_endpgm
	.section	.rodata,"a",@progbits
	.p2align	6, 0x0
	.amdhsa_kernel _ZN2at6native12_GLOBAL__N_124compute_grad_weight_bagsIN3c108BFloat16EiEEvPKT0_PKT_S7_S7_lliS7_SA_lS7_PKlPNS_14AccumulateTypeIS8_Lb1EE4typeEl
		.amdhsa_group_segment_fixed_size 0
		.amdhsa_private_segment_fixed_size 0
		.amdhsa_kernarg_size 368
		.amdhsa_user_sgpr_count 6
		.amdhsa_user_sgpr_private_segment_buffer 1
		.amdhsa_user_sgpr_dispatch_ptr 0
		.amdhsa_user_sgpr_queue_ptr 0
		.amdhsa_user_sgpr_kernarg_segment_ptr 1
		.amdhsa_user_sgpr_dispatch_id 0
		.amdhsa_user_sgpr_flat_scratch_init 0
		.amdhsa_user_sgpr_kernarg_preload_length 0
		.amdhsa_user_sgpr_kernarg_preload_offset 0
		.amdhsa_user_sgpr_private_segment_size 0
		.amdhsa_uses_dynamic_stack 0
		.amdhsa_system_sgpr_private_segment_wavefront_offset 0
		.amdhsa_system_sgpr_workgroup_id_x 1
		.amdhsa_system_sgpr_workgroup_id_y 0
		.amdhsa_system_sgpr_workgroup_id_z 0
		.amdhsa_system_sgpr_workgroup_info 0
		.amdhsa_system_vgpr_workitem_id 0
		.amdhsa_next_free_vgpr 28
		.amdhsa_next_free_sgpr 32
		.amdhsa_accum_offset 28
		.amdhsa_reserve_vcc 1
		.amdhsa_reserve_flat_scratch 0
		.amdhsa_float_round_mode_32 0
		.amdhsa_float_round_mode_16_64 0
		.amdhsa_float_denorm_mode_32 3
		.amdhsa_float_denorm_mode_16_64 3
		.amdhsa_dx10_clamp 1
		.amdhsa_ieee_mode 1
		.amdhsa_fp16_overflow 0
		.amdhsa_tg_split 0
		.amdhsa_exception_fp_ieee_invalid_op 0
		.amdhsa_exception_fp_denorm_src 0
		.amdhsa_exception_fp_ieee_div_zero 0
		.amdhsa_exception_fp_ieee_overflow 0
		.amdhsa_exception_fp_ieee_underflow 0
		.amdhsa_exception_fp_ieee_inexact 0
		.amdhsa_exception_int_div_zero 0
	.end_amdhsa_kernel
	.section	.text._ZN2at6native12_GLOBAL__N_124compute_grad_weight_bagsIN3c108BFloat16EiEEvPKT0_PKT_S7_S7_lliS7_SA_lS7_PKlPNS_14AccumulateTypeIS8_Lb1EE4typeEl,"axG",@progbits,_ZN2at6native12_GLOBAL__N_124compute_grad_weight_bagsIN3c108BFloat16EiEEvPKT0_PKT_S7_S7_lliS7_SA_lS7_PKlPNS_14AccumulateTypeIS8_Lb1EE4typeEl,comdat
.Lfunc_end93:
	.size	_ZN2at6native12_GLOBAL__N_124compute_grad_weight_bagsIN3c108BFloat16EiEEvPKT0_PKT_S7_S7_lliS7_SA_lS7_PKlPNS_14AccumulateTypeIS8_Lb1EE4typeEl, .Lfunc_end93-_ZN2at6native12_GLOBAL__N_124compute_grad_weight_bagsIN3c108BFloat16EiEEvPKT0_PKT_S7_S7_lliS7_SA_lS7_PKlPNS_14AccumulateTypeIS8_Lb1EE4typeEl
                                        ; -- End function
	.section	.AMDGPU.csdata,"",@progbits
; Kernel info:
; codeLenInByte = 1780
; NumSgprs: 36
; NumVgprs: 28
; NumAgprs: 0
; TotalNumVgprs: 28
; ScratchSize: 0
; MemoryBound: 0
; FloatMode: 240
; IeeeMode: 1
; LDSByteSize: 0 bytes/workgroup (compile time only)
; SGPRBlocks: 4
; VGPRBlocks: 3
; NumSGPRsForWavesPerEU: 36
; NumVGPRsForWavesPerEU: 28
; AccumOffset: 28
; Occupancy: 8
; WaveLimiterHint : 1
; COMPUTE_PGM_RSRC2:SCRATCH_EN: 0
; COMPUTE_PGM_RSRC2:USER_SGPR: 6
; COMPUTE_PGM_RSRC2:TRAP_HANDLER: 0
; COMPUTE_PGM_RSRC2:TGID_X_EN: 1
; COMPUTE_PGM_RSRC2:TGID_Y_EN: 0
; COMPUTE_PGM_RSRC2:TGID_Z_EN: 0
; COMPUTE_PGM_RSRC2:TIDIG_COMP_CNT: 0
; COMPUTE_PGM_RSRC3_GFX90A:ACCUM_OFFSET: 6
; COMPUTE_PGM_RSRC3_GFX90A:TG_SPLIT: 0
	.section	.text._ZN2at6native12_GLOBAL__N_119compute_grad_weightIN3c108BFloat16EiEEvPKT0_PKT_S7_llS7_PKlPNS_14AccumulateTypeIS8_Lb1EE4typeEl,"axG",@progbits,_ZN2at6native12_GLOBAL__N_119compute_grad_weightIN3c108BFloat16EiEEvPKT0_PKT_S7_llS7_PKlPNS_14AccumulateTypeIS8_Lb1EE4typeEl,comdat
	.globl	_ZN2at6native12_GLOBAL__N_119compute_grad_weightIN3c108BFloat16EiEEvPKT0_PKT_S7_llS7_PKlPNS_14AccumulateTypeIS8_Lb1EE4typeEl ; -- Begin function _ZN2at6native12_GLOBAL__N_119compute_grad_weightIN3c108BFloat16EiEEvPKT0_PKT_S7_llS7_PKlPNS_14AccumulateTypeIS8_Lb1EE4typeEl
	.p2align	8
	.type	_ZN2at6native12_GLOBAL__N_119compute_grad_weightIN3c108BFloat16EiEEvPKT0_PKT_S7_llS7_PKlPNS_14AccumulateTypeIS8_Lb1EE4typeEl,@function
_ZN2at6native12_GLOBAL__N_119compute_grad_weightIN3c108BFloat16EiEEvPKT0_PKT_S7_llS7_PKlPNS_14AccumulateTypeIS8_Lb1EE4typeEl: ; @_ZN2at6native12_GLOBAL__N_119compute_grad_weightIN3c108BFloat16EiEEvPKT0_PKT_S7_llS7_PKlPNS_14AccumulateTypeIS8_Lb1EE4typeEl
; %bb.0:
	s_load_dword s0, s[4:5], 0x54
	s_load_dwordx2 s[2:3], s[4:5], 0x40
	s_load_dwordx16 s[8:23], s[4:5], 0x0
	v_mov_b32_e32 v1, 0
	v_mov_b32_e32 v2, s6
	s_waitcnt lgkmcnt(0)
	s_and_b32 s0, s0, 0xffff
	v_mad_u64_u32 v[2:3], s[0:1], s0, v2, v[0:1]
	v_or_b32_e32 v5, s3, v3
	v_mov_b32_e32 v4, v1
	v_cmp_ne_u64_e32 vcc, 0, v[4:5]
                                        ; implicit-def: $vgpr0_vgpr1
	s_and_saveexec_b64 s[0:1], vcc
	s_xor_b64 s[4:5], exec, s[0:1]
	s_cbranch_execz .LBB94_2
; %bb.1:
	s_ashr_i32 s6, s3, 31
	s_add_u32 s0, s2, s6
	s_mov_b32 s7, s6
	s_addc_u32 s1, s3, s6
	s_xor_b64 s[24:25], s[0:1], s[6:7]
	v_cvt_f32_u32_e32 v0, s24
	v_cvt_f32_u32_e32 v1, s25
	s_sub_u32 s0, 0, s24
	s_subb_u32 s1, 0, s25
	v_madmk_f32 v0, v1, 0x4f800000, v0
	v_rcp_f32_e32 v0, v0
	v_mul_f32_e32 v0, 0x5f7ffffc, v0
	v_mul_f32_e32 v1, 0x2f800000, v0
	v_trunc_f32_e32 v1, v1
	v_madmk_f32 v0, v1, 0xcf800000, v0
	v_cvt_u32_f32_e32 v1, v1
	v_cvt_u32_f32_e32 v0, v0
	v_mul_lo_u32 v4, s0, v1
	v_mul_hi_u32 v6, s0, v0
	v_mul_lo_u32 v5, s1, v0
	v_add_u32_e32 v4, v6, v4
	v_mul_lo_u32 v7, s0, v0
	v_add_u32_e32 v4, v4, v5
	v_mul_lo_u32 v6, v0, v4
	v_mul_hi_u32 v8, v0, v7
	v_mul_hi_u32 v5, v0, v4
	v_add_co_u32_e32 v6, vcc, v8, v6
	v_addc_co_u32_e32 v5, vcc, 0, v5, vcc
	v_mul_hi_u32 v9, v1, v7
	v_mul_lo_u32 v7, v1, v7
	v_add_co_u32_e32 v6, vcc, v6, v7
	v_mul_hi_u32 v8, v1, v4
	v_addc_co_u32_e32 v5, vcc, v5, v9, vcc
	v_addc_co_u32_e32 v6, vcc, 0, v8, vcc
	v_mul_lo_u32 v4, v1, v4
	v_add_co_u32_e32 v4, vcc, v5, v4
	v_addc_co_u32_e32 v5, vcc, 0, v6, vcc
	v_add_co_u32_e32 v0, vcc, v0, v4
	v_addc_co_u32_e32 v1, vcc, v1, v5, vcc
	v_mul_lo_u32 v4, s0, v1
	v_mul_hi_u32 v5, s0, v0
	v_add_u32_e32 v4, v5, v4
	v_mul_lo_u32 v5, s1, v0
	v_add_u32_e32 v4, v4, v5
	v_mul_lo_u32 v6, s0, v0
	v_mul_hi_u32 v7, v1, v6
	v_mul_lo_u32 v8, v1, v6
	v_mul_lo_u32 v10, v0, v4
	v_mul_hi_u32 v6, v0, v6
	v_mul_hi_u32 v9, v0, v4
	v_add_co_u32_e32 v6, vcc, v6, v10
	v_addc_co_u32_e32 v9, vcc, 0, v9, vcc
	v_add_co_u32_e32 v6, vcc, v6, v8
	v_mul_hi_u32 v5, v1, v4
	v_addc_co_u32_e32 v6, vcc, v9, v7, vcc
	v_addc_co_u32_e32 v5, vcc, 0, v5, vcc
	v_mul_lo_u32 v4, v1, v4
	v_add_co_u32_e32 v4, vcc, v6, v4
	v_addc_co_u32_e32 v5, vcc, 0, v5, vcc
	v_add_co_u32_e32 v4, vcc, v0, v4
	v_addc_co_u32_e32 v5, vcc, v1, v5, vcc
	v_ashrrev_i32_e32 v6, 31, v3
	v_add_co_u32_e32 v0, vcc, v2, v6
	v_addc_co_u32_e32 v1, vcc, v3, v6, vcc
	v_xor_b32_e32 v8, v0, v6
	v_xor_b32_e32 v7, v1, v6
	v_mad_u64_u32 v[0:1], s[0:1], v8, v5, 0
	v_mul_hi_u32 v9, v8, v4
	v_add_co_u32_e32 v9, vcc, v9, v0
	v_addc_co_u32_e32 v10, vcc, 0, v1, vcc
	v_mad_u64_u32 v[0:1], s[0:1], v7, v5, 0
	v_mad_u64_u32 v[4:5], s[0:1], v7, v4, 0
	v_add_co_u32_e32 v4, vcc, v9, v4
	v_addc_co_u32_e32 v4, vcc, v10, v5, vcc
	v_addc_co_u32_e32 v1, vcc, 0, v1, vcc
	v_add_co_u32_e32 v4, vcc, v4, v0
	v_addc_co_u32_e32 v5, vcc, 0, v1, vcc
	v_mul_lo_u32 v9, s25, v4
	v_mul_lo_u32 v10, s24, v5
	v_mad_u64_u32 v[0:1], s[0:1], s24, v4, 0
	v_add3_u32 v1, v1, v10, v9
	v_sub_u32_e32 v9, v7, v1
	v_mov_b32_e32 v10, s25
	v_sub_co_u32_e32 v0, vcc, v8, v0
	v_subb_co_u32_e64 v8, s[0:1], v9, v10, vcc
	v_subrev_co_u32_e64 v9, s[0:1], s24, v0
	v_subbrev_co_u32_e64 v8, s[0:1], 0, v8, s[0:1]
	v_cmp_le_u32_e64 s[0:1], s25, v8
	v_cndmask_b32_e64 v10, 0, -1, s[0:1]
	v_cmp_le_u32_e64 s[0:1], s24, v9
	v_cndmask_b32_e64 v9, 0, -1, s[0:1]
	v_cmp_eq_u32_e64 s[0:1], s25, v8
	v_cndmask_b32_e64 v8, v10, v9, s[0:1]
	v_add_co_u32_e64 v9, s[0:1], 2, v4
	v_subb_co_u32_e32 v1, vcc, v7, v1, vcc
	v_addc_co_u32_e64 v10, s[0:1], 0, v5, s[0:1]
	v_cmp_le_u32_e32 vcc, s25, v1
	v_add_co_u32_e64 v11, s[0:1], 1, v4
	v_cndmask_b32_e64 v7, 0, -1, vcc
	v_cmp_le_u32_e32 vcc, s24, v0
	v_addc_co_u32_e64 v12, s[0:1], 0, v5, s[0:1]
	v_cndmask_b32_e64 v0, 0, -1, vcc
	v_cmp_eq_u32_e32 vcc, s25, v1
	v_cmp_ne_u32_e64 s[0:1], 0, v8
	v_cndmask_b32_e32 v0, v7, v0, vcc
	v_cndmask_b32_e64 v8, v12, v10, s[0:1]
	v_cmp_ne_u32_e32 vcc, 0, v0
	v_cndmask_b32_e64 v1, v11, v9, s[0:1]
	v_cndmask_b32_e32 v0, v5, v8, vcc
	v_cndmask_b32_e32 v1, v4, v1, vcc
	v_xor_b32_e32 v4, s6, v6
	v_xor_b32_e32 v5, v0, v4
	;; [unrolled: 1-line block ×3, first 2 shown]
	v_sub_co_u32_e32 v0, vcc, v0, v4
	v_subb_co_u32_e32 v1, vcc, v5, v4, vcc
.LBB94_2:
	s_or_saveexec_b64 s[0:1], s[4:5]
	s_load_dwordx2 s[4:5], s[20:21], 0x0
	s_xor_b64 exec, exec, s[0:1]
	s_cbranch_execz .LBB94_4
; %bb.3:
	v_cvt_f32_u32_e32 v0, s2
	s_sub_i32 s6, 0, s2
	v_rcp_iflag_f32_e32 v0, v0
	v_mul_f32_e32 v0, 0x4f7ffffe, v0
	v_cvt_u32_f32_e32 v0, v0
	v_mul_lo_u32 v1, s6, v0
	v_mul_hi_u32 v1, v0, v1
	v_add_u32_e32 v0, v0, v1
	v_mul_hi_u32 v0, v2, v0
	v_mul_lo_u32 v1, v0, s2
	v_sub_u32_e32 v1, v2, v1
	v_add_u32_e32 v4, 1, v0
	v_subrev_u32_e32 v5, s2, v1
	v_cmp_le_u32_e32 vcc, s2, v1
	v_cndmask_b32_e32 v1, v1, v5, vcc
	v_cndmask_b32_e32 v0, v0, v4, vcc
	v_add_u32_e32 v4, 1, v0
	v_cmp_le_u32_e32 vcc, s2, v1
	v_cndmask_b32_e32 v0, v0, v4, vcc
	v_mov_b32_e32 v1, 0
.LBB94_4:
	s_or_b64 exec, exec, s[0:1]
	v_mul_lo_u32 v6, v1, s2
	v_mul_lo_u32 v7, v0, s3
	v_mad_u64_u32 v[4:5], s[0:1], v0, s2, 0
	v_add3_u32 v5, v5, v7, v6
	v_sub_co_u32_e32 v2, vcc, v2, v4
	v_subb_co_u32_e32 v3, vcc, v3, v5, vcc
	v_cmp_gt_i64_e32 vcc, s[16:17], v[2:3]
	s_waitcnt lgkmcnt(0)
	v_cmp_gt_i64_e64 s[0:1], s[4:5], v[0:1]
	s_and_b64 s[0:1], vcc, s[0:1]
	s_and_saveexec_b64 s[2:3], s[0:1]
	s_cbranch_execz .LBB94_17
; %bb.5:
	v_lshlrev_b64 v[4:5], 2, v[0:1]
	v_mov_b32_e32 v7, s19
	v_add_co_u32_e32 v6, vcc, s18, v4
	v_addc_co_u32_e32 v7, vcc, v7, v5, vcc
	global_load_dword v4, v[6:7], off
	s_add_u32 s0, s4, -1
	s_addc_u32 s1, s5, -1
	v_cmp_ne_u64_e32 vcc, s[0:1], v[0:1]
                                        ; implicit-def: $vgpr10
	s_and_saveexec_b64 s[0:1], vcc
	s_xor_b64 s[0:1], exec, s[0:1]
	s_cbranch_execz .LBB94_7
; %bb.6:
	global_load_dword v10, v[6:7], off offset:4
.LBB94_7:
	s_andn2_saveexec_b64 s[0:1], s[0:1]
	s_cbranch_execz .LBB94_9
; %bb.8:
	s_waitcnt vmcnt(0)
	v_mov_b32_e32 v10, s14
.LBB94_9:
	s_or_b64 exec, exec, s[0:1]
	s_waitcnt vmcnt(0)
	v_cmp_lt_i32_e32 vcc, v4, v10
	v_mov_b32_e32 v5, 0
	s_and_saveexec_b64 s[2:3], vcc
	s_cbranch_execz .LBB94_16
; %bb.10:
	v_lshlrev_b64 v[6:7], 1, v[2:3]
	v_mov_b32_e32 v5, s11
	v_add_co_u32_e32 v11, vcc, s10, v6
	v_addc_co_u32_e32 v12, vcc, v5, v7, vcc
	v_ashrrev_i32_e32 v5, 31, v4
	v_lshlrev_b64 v[8:9], 2, v[4:5]
	s_cmp_lg_u64 s[12:13], 0
	v_mov_b32_e32 v5, s9
	v_add_co_u32_e32 v6, vcc, s8, v8
	v_addc_co_u32_e32 v7, vcc, v5, v9, vcc
	s_cselect_b64 s[0:1], -1, 0
	v_mov_b32_e32 v5, s13
	v_add_co_u32_e32 v8, vcc, s12, v8
	v_cndmask_b32_e64 v13, 0, 1, s[0:1]
	s_mov_b64 s[4:5], 0
	v_addc_co_u32_e32 v9, vcc, v5, v9, vcc
	v_mov_b32_e32 v5, 0
	v_cmp_ne_u32_e64 s[0:1], 1, v13
	s_branch .LBB94_13
.LBB94_11:                              ;   in Loop: Header=BB94_13 Depth=1
	global_load_dword v13, v[8:9], off
	s_waitcnt vmcnt(0)
	v_cvt_f32_i32_e32 v13, v13
	v_div_scale_f32 v15, s[6:7], v13, v13, 1.0
	v_rcp_f32_e32 v16, v15
	v_div_scale_f32 v17, vcc, 1.0, v13, 1.0
	v_fma_f32 v18, -v15, v16, 1.0
	v_fmac_f32_e32 v16, v18, v16
	v_mul_f32_e32 v18, v17, v16
	v_fma_f32 v19, -v15, v18, v17
	v_fmac_f32_e32 v18, v19, v16
	v_fma_f32 v15, -v15, v18, v17
	v_div_fmas_f32 v15, v15, v16, v18
	v_div_fixup_f32 v13, v15, v13, 1.0
.LBB94_12:                              ;   in Loop: Header=BB94_13 Depth=1
	s_waitcnt vmcnt(0)
	v_ashrrev_i32_e32 v15, 31, v14
	v_mul_lo_u32 v16, v14, s17
	v_mul_lo_u32 v17, v15, s16
	v_mad_u64_u32 v[14:15], s[6:7], v14, s16, 0
	v_add3_u32 v15, v15, v16, v17
	v_lshlrev_b64 v[14:15], 1, v[14:15]
	v_add_co_u32_e32 v14, vcc, v11, v14
	v_addc_co_u32_e32 v15, vcc, v12, v15, vcc
	global_load_ushort v14, v[14:15], off
	v_add_co_u32_e32 v6, vcc, 4, v6
	v_add_u32_e32 v4, 1, v4
	v_addc_co_u32_e32 v7, vcc, 0, v7, vcc
	v_cmp_ge_i32_e32 vcc, v4, v10
	s_or_b64 s[4:5], vcc, s[4:5]
	v_add_co_u32_e32 v8, vcc, 4, v8
	v_addc_co_u32_e32 v9, vcc, 0, v9, vcc
	s_waitcnt vmcnt(0)
	v_lshlrev_b32_e32 v14, 16, v14
	v_fmac_f32_e32 v5, v13, v14
	s_andn2_b64 exec, exec, s[4:5]
	s_cbranch_execz .LBB94_15
.LBB94_13:                              ; =>This Inner Loop Header: Depth=1
	global_load_dword v14, v[6:7], off
	s_and_b64 vcc, exec, s[0:1]
	s_cbranch_vccz .LBB94_11
; %bb.14:                               ;   in Loop: Header=BB94_13 Depth=1
	v_mov_b32_e32 v13, 1.0
	s_branch .LBB94_12
.LBB94_15:
	s_or_b64 exec, exec, s[4:5]
.LBB94_16:
	s_or_b64 exec, exec, s[2:3]
	v_mul_lo_u32 v4, v1, s16
	v_mul_lo_u32 v6, v0, s17
	v_mad_u64_u32 v[0:1], s[0:1], v0, s16, 0
	v_add3_u32 v1, v1, v6, v4
	v_lshlrev_b64 v[0:1], 2, v[0:1]
	v_mov_b32_e32 v4, s23
	v_add_co_u32_e32 v6, vcc, s22, v0
	v_addc_co_u32_e32 v4, vcc, v4, v1, vcc
	v_lshlrev_b64 v[0:1], 2, v[2:3]
	v_add_co_u32_e32 v0, vcc, v6, v0
	v_addc_co_u32_e32 v1, vcc, v4, v1, vcc
	global_store_dword v[0:1], v5, off
.LBB94_17:
	s_endpgm
	.section	.rodata,"a",@progbits
	.p2align	6, 0x0
	.amdhsa_kernel _ZN2at6native12_GLOBAL__N_119compute_grad_weightIN3c108BFloat16EiEEvPKT0_PKT_S7_llS7_PKlPNS_14AccumulateTypeIS8_Lb1EE4typeEl
		.amdhsa_group_segment_fixed_size 0
		.amdhsa_private_segment_fixed_size 0
		.amdhsa_kernarg_size 328
		.amdhsa_user_sgpr_count 6
		.amdhsa_user_sgpr_private_segment_buffer 1
		.amdhsa_user_sgpr_dispatch_ptr 0
		.amdhsa_user_sgpr_queue_ptr 0
		.amdhsa_user_sgpr_kernarg_segment_ptr 1
		.amdhsa_user_sgpr_dispatch_id 0
		.amdhsa_user_sgpr_flat_scratch_init 0
		.amdhsa_user_sgpr_kernarg_preload_length 0
		.amdhsa_user_sgpr_kernarg_preload_offset 0
		.amdhsa_user_sgpr_private_segment_size 0
		.amdhsa_uses_dynamic_stack 0
		.amdhsa_system_sgpr_private_segment_wavefront_offset 0
		.amdhsa_system_sgpr_workgroup_id_x 1
		.amdhsa_system_sgpr_workgroup_id_y 0
		.amdhsa_system_sgpr_workgroup_id_z 0
		.amdhsa_system_sgpr_workgroup_info 0
		.amdhsa_system_vgpr_workitem_id 0
		.amdhsa_next_free_vgpr 20
		.amdhsa_next_free_sgpr 26
		.amdhsa_accum_offset 20
		.amdhsa_reserve_vcc 1
		.amdhsa_reserve_flat_scratch 0
		.amdhsa_float_round_mode_32 0
		.amdhsa_float_round_mode_16_64 0
		.amdhsa_float_denorm_mode_32 3
		.amdhsa_float_denorm_mode_16_64 3
		.amdhsa_dx10_clamp 1
		.amdhsa_ieee_mode 1
		.amdhsa_fp16_overflow 0
		.amdhsa_tg_split 0
		.amdhsa_exception_fp_ieee_invalid_op 0
		.amdhsa_exception_fp_denorm_src 0
		.amdhsa_exception_fp_ieee_div_zero 0
		.amdhsa_exception_fp_ieee_overflow 0
		.amdhsa_exception_fp_ieee_underflow 0
		.amdhsa_exception_fp_ieee_inexact 0
		.amdhsa_exception_int_div_zero 0
	.end_amdhsa_kernel
	.section	.text._ZN2at6native12_GLOBAL__N_119compute_grad_weightIN3c108BFloat16EiEEvPKT0_PKT_S7_llS7_PKlPNS_14AccumulateTypeIS8_Lb1EE4typeEl,"axG",@progbits,_ZN2at6native12_GLOBAL__N_119compute_grad_weightIN3c108BFloat16EiEEvPKT0_PKT_S7_llS7_PKlPNS_14AccumulateTypeIS8_Lb1EE4typeEl,comdat
.Lfunc_end94:
	.size	_ZN2at6native12_GLOBAL__N_119compute_grad_weightIN3c108BFloat16EiEEvPKT0_PKT_S7_llS7_PKlPNS_14AccumulateTypeIS8_Lb1EE4typeEl, .Lfunc_end94-_ZN2at6native12_GLOBAL__N_119compute_grad_weightIN3c108BFloat16EiEEvPKT0_PKT_S7_llS7_PKlPNS_14AccumulateTypeIS8_Lb1EE4typeEl
                                        ; -- End function
	.section	.AMDGPU.csdata,"",@progbits
; Kernel info:
; codeLenInByte = 1448
; NumSgprs: 30
; NumVgprs: 20
; NumAgprs: 0
; TotalNumVgprs: 20
; ScratchSize: 0
; MemoryBound: 0
; FloatMode: 240
; IeeeMode: 1
; LDSByteSize: 0 bytes/workgroup (compile time only)
; SGPRBlocks: 3
; VGPRBlocks: 2
; NumSGPRsForWavesPerEU: 30
; NumVGPRsForWavesPerEU: 20
; AccumOffset: 20
; Occupancy: 8
; WaveLimiterHint : 1
; COMPUTE_PGM_RSRC2:SCRATCH_EN: 0
; COMPUTE_PGM_RSRC2:USER_SGPR: 6
; COMPUTE_PGM_RSRC2:TRAP_HANDLER: 0
; COMPUTE_PGM_RSRC2:TGID_X_EN: 1
; COMPUTE_PGM_RSRC2:TGID_Y_EN: 0
; COMPUTE_PGM_RSRC2:TGID_Z_EN: 0
; COMPUTE_PGM_RSRC2:TIDIG_COMP_CNT: 0
; COMPUTE_PGM_RSRC3_GFX90A:ACCUM_OFFSET: 4
; COMPUTE_PGM_RSRC3_GFX90A:TG_SPLIT: 0
	.section	.text._ZN2at6native12_GLOBAL__N_115sum_and_scatterIN3c108BFloat16EiEEvPKT0_PT_lS7_PKlPKNS_14AccumulateTypeIS8_Lb1EE4typeES7_SB_ll,"axG",@progbits,_ZN2at6native12_GLOBAL__N_115sum_and_scatterIN3c108BFloat16EiEEvPKT0_PT_lS7_PKlPKNS_14AccumulateTypeIS8_Lb1EE4typeES7_SB_ll,comdat
	.globl	_ZN2at6native12_GLOBAL__N_115sum_and_scatterIN3c108BFloat16EiEEvPKT0_PT_lS7_PKlPKNS_14AccumulateTypeIS8_Lb1EE4typeES7_SB_ll ; -- Begin function _ZN2at6native12_GLOBAL__N_115sum_and_scatterIN3c108BFloat16EiEEvPKT0_PT_lS7_PKlPKNS_14AccumulateTypeIS8_Lb1EE4typeES7_SB_ll
	.p2align	8
	.type	_ZN2at6native12_GLOBAL__N_115sum_and_scatterIN3c108BFloat16EiEEvPKT0_PT_lS7_PKlPKNS_14AccumulateTypeIS8_Lb1EE4typeES7_SB_ll,@function
_ZN2at6native12_GLOBAL__N_115sum_and_scatterIN3c108BFloat16EiEEvPKT0_PT_lS7_PKlPKNS_14AccumulateTypeIS8_Lb1EE4typeES7_SB_ll: ; @_ZN2at6native12_GLOBAL__N_115sum_and_scatterIN3c108BFloat16EiEEvPKT0_PT_lS7_PKlPKNS_14AccumulateTypeIS8_Lb1EE4typeES7_SB_ll
; %bb.0:
	s_load_dword s0, s[4:5], 0x5c
	s_load_dwordx4 s[24:27], s[4:5], 0x40
	s_load_dwordx16 s[8:23], s[4:5], 0x0
	v_mov_b32_e32 v1, 0
	v_mov_b32_e32 v2, s6
	s_waitcnt lgkmcnt(0)
	s_and_b32 s0, s0, 0xffff
	v_mad_u64_u32 v[2:3], s[0:1], s0, v2, v[0:1]
	v_or_b32_e32 v5, s27, v3
	v_mov_b32_e32 v4, v1
	v_cmp_ne_u64_e32 vcc, 0, v[4:5]
                                        ; implicit-def: $vgpr8_vgpr9
	s_and_saveexec_b64 s[0:1], vcc
	s_xor_b64 s[2:3], exec, s[0:1]
	s_cbranch_execz .LBB95_2
; %bb.1:
	s_ashr_i32 s4, s27, 31
	s_add_u32 s0, s26, s4
	s_mov_b32 s5, s4
	s_addc_u32 s1, s27, s4
	s_xor_b64 s[6:7], s[0:1], s[4:5]
	v_cvt_f32_u32_e32 v0, s6
	v_cvt_f32_u32_e32 v1, s7
	s_sub_u32 s0, 0, s6
	s_subb_u32 s1, 0, s7
	v_madmk_f32 v0, v1, 0x4f800000, v0
	v_rcp_f32_e32 v0, v0
	v_mul_f32_e32 v0, 0x5f7ffffc, v0
	v_mul_f32_e32 v1, 0x2f800000, v0
	v_trunc_f32_e32 v1, v1
	v_madmk_f32 v0, v1, 0xcf800000, v0
	v_cvt_u32_f32_e32 v1, v1
	v_cvt_u32_f32_e32 v0, v0
	v_mul_lo_u32 v4, s0, v1
	v_mul_hi_u32 v6, s0, v0
	v_mul_lo_u32 v5, s1, v0
	v_add_u32_e32 v4, v6, v4
	v_mul_lo_u32 v7, s0, v0
	v_add_u32_e32 v4, v4, v5
	v_mul_lo_u32 v6, v0, v4
	v_mul_hi_u32 v8, v0, v7
	v_mul_hi_u32 v5, v0, v4
	v_add_co_u32_e32 v6, vcc, v8, v6
	v_addc_co_u32_e32 v5, vcc, 0, v5, vcc
	v_mul_hi_u32 v9, v1, v7
	v_mul_lo_u32 v7, v1, v7
	v_add_co_u32_e32 v6, vcc, v6, v7
	v_mul_hi_u32 v8, v1, v4
	v_addc_co_u32_e32 v5, vcc, v5, v9, vcc
	v_addc_co_u32_e32 v6, vcc, 0, v8, vcc
	v_mul_lo_u32 v4, v1, v4
	v_add_co_u32_e32 v4, vcc, v5, v4
	v_addc_co_u32_e32 v5, vcc, 0, v6, vcc
	v_add_co_u32_e32 v0, vcc, v0, v4
	v_addc_co_u32_e32 v1, vcc, v1, v5, vcc
	v_mul_lo_u32 v4, s0, v1
	v_mul_hi_u32 v5, s0, v0
	v_add_u32_e32 v4, v5, v4
	v_mul_lo_u32 v5, s1, v0
	v_add_u32_e32 v4, v4, v5
	v_mul_lo_u32 v6, s0, v0
	v_mul_hi_u32 v7, v1, v6
	v_mul_lo_u32 v8, v1, v6
	v_mul_lo_u32 v10, v0, v4
	v_mul_hi_u32 v6, v0, v6
	v_mul_hi_u32 v9, v0, v4
	v_add_co_u32_e32 v6, vcc, v6, v10
	v_addc_co_u32_e32 v9, vcc, 0, v9, vcc
	v_add_co_u32_e32 v6, vcc, v6, v8
	v_mul_hi_u32 v5, v1, v4
	v_addc_co_u32_e32 v6, vcc, v9, v7, vcc
	v_addc_co_u32_e32 v5, vcc, 0, v5, vcc
	v_mul_lo_u32 v4, v1, v4
	v_add_co_u32_e32 v4, vcc, v6, v4
	v_addc_co_u32_e32 v5, vcc, 0, v5, vcc
	v_add_co_u32_e32 v4, vcc, v0, v4
	v_addc_co_u32_e32 v5, vcc, v1, v5, vcc
	v_ashrrev_i32_e32 v6, 31, v3
	v_add_co_u32_e32 v0, vcc, v2, v6
	v_addc_co_u32_e32 v1, vcc, v3, v6, vcc
	v_xor_b32_e32 v8, v0, v6
	v_xor_b32_e32 v7, v1, v6
	v_mad_u64_u32 v[0:1], s[0:1], v8, v5, 0
	v_mul_hi_u32 v9, v8, v4
	v_add_co_u32_e32 v9, vcc, v9, v0
	v_addc_co_u32_e32 v10, vcc, 0, v1, vcc
	v_mad_u64_u32 v[0:1], s[0:1], v7, v5, 0
	v_mad_u64_u32 v[4:5], s[0:1], v7, v4, 0
	v_add_co_u32_e32 v4, vcc, v9, v4
	v_addc_co_u32_e32 v4, vcc, v10, v5, vcc
	v_addc_co_u32_e32 v1, vcc, 0, v1, vcc
	v_add_co_u32_e32 v4, vcc, v4, v0
	v_addc_co_u32_e32 v5, vcc, 0, v1, vcc
	v_mul_lo_u32 v9, s7, v4
	v_mul_lo_u32 v10, s6, v5
	v_mad_u64_u32 v[0:1], s[0:1], s6, v4, 0
	v_add3_u32 v1, v1, v10, v9
	v_sub_u32_e32 v9, v7, v1
	v_mov_b32_e32 v10, s7
	v_sub_co_u32_e32 v0, vcc, v8, v0
	v_subb_co_u32_e64 v8, s[0:1], v9, v10, vcc
	v_subrev_co_u32_e64 v9, s[0:1], s6, v0
	v_subbrev_co_u32_e64 v8, s[0:1], 0, v8, s[0:1]
	v_cmp_le_u32_e64 s[0:1], s7, v8
	v_cndmask_b32_e64 v10, 0, -1, s[0:1]
	v_cmp_le_u32_e64 s[0:1], s6, v9
	v_cndmask_b32_e64 v9, 0, -1, s[0:1]
	v_cmp_eq_u32_e64 s[0:1], s7, v8
	v_cndmask_b32_e64 v8, v10, v9, s[0:1]
	v_add_co_u32_e64 v9, s[0:1], 2, v4
	v_subb_co_u32_e32 v1, vcc, v7, v1, vcc
	v_addc_co_u32_e64 v10, s[0:1], 0, v5, s[0:1]
	v_cmp_le_u32_e32 vcc, s7, v1
	v_add_co_u32_e64 v11, s[0:1], 1, v4
	v_cndmask_b32_e64 v7, 0, -1, vcc
	v_cmp_le_u32_e32 vcc, s6, v0
	v_addc_co_u32_e64 v12, s[0:1], 0, v5, s[0:1]
	v_cndmask_b32_e64 v0, 0, -1, vcc
	v_cmp_eq_u32_e32 vcc, s7, v1
	v_cmp_ne_u32_e64 s[0:1], 0, v8
	v_cndmask_b32_e32 v0, v7, v0, vcc
	v_cmp_ne_u32_e32 vcc, 0, v0
	v_cndmask_b32_e64 v1, v11, v9, s[0:1]
	v_cndmask_b32_e64 v8, v12, v10, s[0:1]
	v_cndmask_b32_e32 v1, v4, v1, vcc
	v_xor_b32_e32 v4, s4, v6
	v_cndmask_b32_e32 v0, v5, v8, vcc
	v_xor_b32_e32 v1, v1, v4
	v_xor_b32_e32 v0, v0, v4
	v_sub_co_u32_e32 v8, vcc, v1, v4
	v_subb_co_u32_e32 v9, vcc, v0, v4, vcc
.LBB95_2:
	s_or_saveexec_b64 s[0:1], s[2:3]
	s_load_dwordx2 s[2:3], s[16:17], 0x0
	s_xor_b64 exec, exec, s[0:1]
	s_cbranch_execz .LBB95_4
; %bb.3:
	v_cvt_f32_u32_e32 v0, s26
	s_sub_i32 s4, 0, s26
	v_mov_b32_e32 v9, 0
	v_rcp_iflag_f32_e32 v0, v0
	v_mul_f32_e32 v0, 0x4f7ffffe, v0
	v_cvt_u32_f32_e32 v0, v0
	v_mul_lo_u32 v1, s4, v0
	v_mul_hi_u32 v1, v0, v1
	v_add_u32_e32 v0, v0, v1
	v_mul_hi_u32 v0, v2, v0
	v_mul_lo_u32 v1, v0, s26
	v_sub_u32_e32 v1, v2, v1
	v_add_u32_e32 v4, 1, v0
	v_subrev_u32_e32 v5, s26, v1
	v_cmp_le_u32_e32 vcc, s26, v1
	v_cndmask_b32_e32 v1, v1, v5, vcc
	v_cndmask_b32_e32 v0, v0, v4, vcc
	v_add_u32_e32 v4, 1, v0
	v_cmp_le_u32_e32 vcc, s26, v1
	v_cndmask_b32_e32 v8, v0, v4, vcc
.LBB95_4:
	s_or_b64 exec, exec, s[0:1]
	v_mul_lo_u32 v0, v9, s26
	v_mul_lo_u32 v1, v8, s27
	v_mad_u64_u32 v[6:7], s[0:1], v8, s26, 0
	v_add3_u32 v7, v7, v1, v0
	v_sub_co_u32_e32 v0, vcc, v2, v6
	v_subb_co_u32_e32 v1, vcc, v3, v7, vcc
	v_cmp_gt_i64_e32 vcc, s[12:13], v[0:1]
	s_waitcnt lgkmcnt(0)
	v_cmp_gt_i64_e64 s[0:1], s[2:3], v[8:9]
	s_and_b64 s[0:1], vcc, s[0:1]
	s_and_saveexec_b64 s[4:5], s[0:1]
	s_cbranch_execz .LBB95_15
; %bb.5:
	v_lshlrev_b64 v[4:5], 2, v[8:9]
	v_mov_b32_e32 v11, s21
	v_add_co_u32_e32 v10, vcc, s20, v4
	v_addc_co_u32_e32 v11, vcc, v11, v5, vcc
	global_load_dword v12, v[10:11], off
	s_add_u32 s0, s2, -1
	s_addc_u32 s1, s3, -1
	v_cmp_ne_u64_e32 vcc, s[0:1], v[8:9]
                                        ; implicit-def: $vgpr9
	s_and_saveexec_b64 s[0:1], vcc
	s_xor_b64 s[0:1], exec, s[0:1]
	s_cbranch_execz .LBB95_7
; %bb.6:
	global_load_dword v9, v[10:11], off offset:4
.LBB95_7:
	s_andn2_saveexec_b64 s[0:1], s[0:1]
	s_cbranch_execz .LBB95_9
; %bb.8:
	s_load_dwordx2 s[2:3], s[22:23], 0x0
	s_waitcnt vmcnt(0) lgkmcnt(0)
	v_mov_b32_e32 v9, s2
.LBB95_9:
	s_or_b64 exec, exec, s[0:1]
	s_waitcnt vmcnt(0)
	v_cmp_lt_i32_e32 vcc, v12, v9
	v_mov_b32_e32 v8, 0
	s_and_saveexec_b64 s[0:1], vcc
	s_cbranch_execz .LBB95_13
; %bb.10:
	v_ashrrev_i32_e32 v8, 31, v12
	v_mul_lo_u32 v13, s13, v12
	v_mul_lo_u32 v8, s12, v8
	v_mad_u64_u32 v[10:11], s[2:3], s12, v12, 0
	v_add3_u32 v11, v11, v8, v13
	v_lshlrev_b64 v[10:11], 2, v[10:11]
	v_lshlrev_b64 v[2:3], 2, v[2:3]
	v_add_co_u32_e32 v8, vcc, v10, v2
	v_addc_co_u32_e32 v10, vcc, v11, v3, vcc
	v_lshlrev_b64 v[2:3], 2, v[6:7]
	v_sub_co_u32_e32 v2, vcc, v8, v2
	v_subb_co_u32_e32 v3, vcc, v10, v3, vcc
	v_mov_b32_e32 v6, s19
	v_add_co_u32_e32 v2, vcc, s18, v2
	s_lshl_b64 s[4:5], s[12:13], 2
	v_addc_co_u32_e32 v3, vcc, v6, v3, vcc
	s_mov_b64 s[2:3], 0
	v_mov_b32_e32 v8, 0
	v_mov_b32_e32 v6, s5
.LBB95_11:                              ; =>This Inner Loop Header: Depth=1
	global_load_dword v7, v[2:3], off
	v_add_co_u32_e32 v2, vcc, s4, v2
	v_add_u32_e32 v12, 1, v12
	v_addc_co_u32_e32 v3, vcc, v3, v6, vcc
	v_cmp_ge_i32_e32 vcc, v12, v9
	s_or_b64 s[2:3], vcc, s[2:3]
	s_waitcnt vmcnt(0)
	v_add_f32_e32 v8, v8, v7
	s_andn2_b64 exec, exec, s[2:3]
	s_cbranch_execnz .LBB95_11
; %bb.12:
	s_or_b64 exec, exec, s[2:3]
.LBB95_13:
	s_or_b64 exec, exec, s[0:1]
	v_mov_b32_e32 v3, s15
	v_add_co_u32_e32 v2, vcc, s14, v4
	v_addc_co_u32_e32 v3, vcc, v3, v5, vcc
	global_load_dword v2, v[2:3], off
	v_mov_b32_e32 v4, s9
	s_waitcnt vmcnt(0)
	v_ashrrev_i32_e32 v3, 31, v2
	v_lshlrev_b64 v[2:3], 2, v[2:3]
	v_add_co_u32_e32 v2, vcc, s8, v2
	v_addc_co_u32_e32 v3, vcc, v4, v3, vcc
	global_load_dword v2, v[2:3], off
	s_waitcnt vmcnt(0)
	v_ashrrev_i32_e32 v3, 31, v2
	v_cmp_ne_u64_e32 vcc, s[24:25], v[2:3]
	s_and_b64 exec, exec, vcc
	s_cbranch_execz .LBB95_15
; %bb.14:
	v_bfe_u32 v4, v8, 16, 1
	s_movk_i32 s0, 0x7fff
	v_add3_u32 v4, v8, v4, s0
	v_lshrrev_b32_e32 v4, 16, v4
	v_mov_b32_e32 v5, 0x7fc0
	v_cmp_o_f32_e32 vcc, v8, v8
	v_cndmask_b32_e32 v4, v5, v4, vcc
	v_mul_lo_u32 v5, v3, s12
	v_mul_lo_u32 v6, v2, s13
	v_mad_u64_u32 v[2:3], s[0:1], v2, s12, 0
	v_add3_u32 v3, v3, v6, v5
	v_lshlrev_b64 v[2:3], 1, v[2:3]
	v_mov_b32_e32 v5, s11
	v_add_co_u32_e32 v2, vcc, s10, v2
	v_addc_co_u32_e32 v3, vcc, v5, v3, vcc
	v_lshlrev_b64 v[0:1], 1, v[0:1]
	v_add_co_u32_e32 v0, vcc, v2, v0
	v_addc_co_u32_e32 v1, vcc, v3, v1, vcc
	global_store_short v[0:1], v4, off
.LBB95_15:
	s_endpgm
	.section	.rodata,"a",@progbits
	.p2align	6, 0x0
	.amdhsa_kernel _ZN2at6native12_GLOBAL__N_115sum_and_scatterIN3c108BFloat16EiEEvPKT0_PT_lS7_PKlPKNS_14AccumulateTypeIS8_Lb1EE4typeES7_SB_ll
		.amdhsa_group_segment_fixed_size 0
		.amdhsa_private_segment_fixed_size 0
		.amdhsa_kernarg_size 336
		.amdhsa_user_sgpr_count 6
		.amdhsa_user_sgpr_private_segment_buffer 1
		.amdhsa_user_sgpr_dispatch_ptr 0
		.amdhsa_user_sgpr_queue_ptr 0
		.amdhsa_user_sgpr_kernarg_segment_ptr 1
		.amdhsa_user_sgpr_dispatch_id 0
		.amdhsa_user_sgpr_flat_scratch_init 0
		.amdhsa_user_sgpr_kernarg_preload_length 0
		.amdhsa_user_sgpr_kernarg_preload_offset 0
		.amdhsa_user_sgpr_private_segment_size 0
		.amdhsa_uses_dynamic_stack 0
		.amdhsa_system_sgpr_private_segment_wavefront_offset 0
		.amdhsa_system_sgpr_workgroup_id_x 1
		.amdhsa_system_sgpr_workgroup_id_y 0
		.amdhsa_system_sgpr_workgroup_id_z 0
		.amdhsa_system_sgpr_workgroup_info 0
		.amdhsa_system_vgpr_workitem_id 0
		.amdhsa_next_free_vgpr 14
		.amdhsa_next_free_sgpr 28
		.amdhsa_accum_offset 16
		.amdhsa_reserve_vcc 1
		.amdhsa_reserve_flat_scratch 0
		.amdhsa_float_round_mode_32 0
		.amdhsa_float_round_mode_16_64 0
		.amdhsa_float_denorm_mode_32 3
		.amdhsa_float_denorm_mode_16_64 3
		.amdhsa_dx10_clamp 1
		.amdhsa_ieee_mode 1
		.amdhsa_fp16_overflow 0
		.amdhsa_tg_split 0
		.amdhsa_exception_fp_ieee_invalid_op 0
		.amdhsa_exception_fp_denorm_src 0
		.amdhsa_exception_fp_ieee_div_zero 0
		.amdhsa_exception_fp_ieee_overflow 0
		.amdhsa_exception_fp_ieee_underflow 0
		.amdhsa_exception_fp_ieee_inexact 0
		.amdhsa_exception_int_div_zero 0
	.end_amdhsa_kernel
	.section	.text._ZN2at6native12_GLOBAL__N_115sum_and_scatterIN3c108BFloat16EiEEvPKT0_PT_lS7_PKlPKNS_14AccumulateTypeIS8_Lb1EE4typeES7_SB_ll,"axG",@progbits,_ZN2at6native12_GLOBAL__N_115sum_and_scatterIN3c108BFloat16EiEEvPKT0_PT_lS7_PKlPKNS_14AccumulateTypeIS8_Lb1EE4typeES7_SB_ll,comdat
.Lfunc_end95:
	.size	_ZN2at6native12_GLOBAL__N_115sum_and_scatterIN3c108BFloat16EiEEvPKT0_PT_lS7_PKlPKNS_14AccumulateTypeIS8_Lb1EE4typeES7_SB_ll, .Lfunc_end95-_ZN2at6native12_GLOBAL__N_115sum_and_scatterIN3c108BFloat16EiEEvPKT0_PT_lS7_PKlPKNS_14AccumulateTypeIS8_Lb1EE4typeES7_SB_ll
                                        ; -- End function
	.section	.AMDGPU.csdata,"",@progbits
; Kernel info:
; codeLenInByte = 1404
; NumSgprs: 32
; NumVgprs: 14
; NumAgprs: 0
; TotalNumVgprs: 14
; ScratchSize: 0
; MemoryBound: 0
; FloatMode: 240
; IeeeMode: 1
; LDSByteSize: 0 bytes/workgroup (compile time only)
; SGPRBlocks: 3
; VGPRBlocks: 1
; NumSGPRsForWavesPerEU: 32
; NumVGPRsForWavesPerEU: 14
; AccumOffset: 16
; Occupancy: 8
; WaveLimiterHint : 1
; COMPUTE_PGM_RSRC2:SCRATCH_EN: 0
; COMPUTE_PGM_RSRC2:USER_SGPR: 6
; COMPUTE_PGM_RSRC2:TRAP_HANDLER: 0
; COMPUTE_PGM_RSRC2:TGID_X_EN: 1
; COMPUTE_PGM_RSRC2:TGID_Y_EN: 0
; COMPUTE_PGM_RSRC2:TGID_Z_EN: 0
; COMPUTE_PGM_RSRC2:TIDIG_COMP_CNT: 0
; COMPUTE_PGM_RSRC3_GFX90A:ACCUM_OFFSET: 3
; COMPUTE_PGM_RSRC3_GFX90A:TG_SPLIT: 0
	.section	.text._ZN2at6native12_GLOBAL__N_124krn_partials_per_segmentIlEEvPT_PKS3_PKll,"axG",@progbits,_ZN2at6native12_GLOBAL__N_124krn_partials_per_segmentIlEEvPT_PKS3_PKll,comdat
	.globl	_ZN2at6native12_GLOBAL__N_124krn_partials_per_segmentIlEEvPT_PKS3_PKll ; -- Begin function _ZN2at6native12_GLOBAL__N_124krn_partials_per_segmentIlEEvPT_PKS3_PKll
	.p2align	8
	.type	_ZN2at6native12_GLOBAL__N_124krn_partials_per_segmentIlEEvPT_PKS3_PKll,@function
_ZN2at6native12_GLOBAL__N_124krn_partials_per_segmentIlEEvPT_PKS3_PKll: ; @_ZN2at6native12_GLOBAL__N_124krn_partials_per_segmentIlEEvPT_PKS3_PKll
; %bb.0:
	s_load_dwordx8 s[8:15], s[4:5], 0x0
	s_load_dword s2, s[4:5], 0x2c
	s_waitcnt lgkmcnt(0)
	s_and_b32 s2, s2, 0xffff
	s_load_dwordx2 s[0:1], s[12:13], 0x0
	s_mul_i32 s6, s6, s2
	v_add_u32_e32 v2, s6, v0
	v_ashrrev_i32_e32 v3, 31, v2
	s_waitcnt lgkmcnt(0)
	v_cmp_gt_i64_e32 vcc, s[0:1], v[2:3]
	s_and_saveexec_b64 s[2:3], vcc
	s_cbranch_execz .LBB96_4
; %bb.1:
	v_lshlrev_b64 v[0:1], 3, v[2:3]
	v_mov_b32_e32 v4, s11
	v_add_co_u32_e32 v6, vcc, s10, v0
	v_addc_co_u32_e32 v7, vcc, v4, v1, vcc
	global_load_dwordx2 v[4:5], v[6:7], off
	s_add_u32 s0, s0, -1
	s_addc_u32 s1, s1, -1
	v_cmp_ne_u64_e32 vcc, s[0:1], v[2:3]
	v_pk_mov_b32 v[2:3], s[14:15], s[14:15] op_sel:[0,1]
	s_and_saveexec_b64 s[0:1], vcc
	s_cbranch_execz .LBB96_3
; %bb.2:
	global_load_dwordx2 v[2:3], v[6:7], off offset:8
.LBB96_3:
	s_or_b64 exec, exec, s[0:1]
	s_add_u32 s0, 0, 0x99986000
	s_addc_u32 s1, 0, 0x59
	s_add_i32 s1, s1, 0x19999940
	s_mul_hi_u32 s5, s0, -10
	s_mul_i32 s6, s1, -10
	s_add_i32 s5, s5, s6
	s_mul_i32 s2, s0, -10
	s_sub_i32 s5, s5, s0
	s_mul_hi_u32 s3, s1, s2
	s_mul_i32 s4, s1, s2
	s_mul_i32 s7, s0, s5
	s_mul_hi_u32 s2, s0, s2
	s_mul_hi_u32 s6, s0, s5
	s_add_u32 s2, s2, s7
	s_addc_u32 s6, 0, s6
	s_add_u32 s2, s2, s4
	s_waitcnt vmcnt(0)
	v_sub_co_u32_e32 v2, vcc, v2, v4
	s_mul_hi_u32 s7, s1, s5
	s_addc_u32 s2, s6, s3
	v_subb_co_u32_e32 v3, vcc, v3, v5, vcc
	s_addc_u32 s3, s7, 0
	s_mul_i32 s4, s1, s5
	v_add_co_u32_e32 v2, vcc, 9, v2
	s_add_u32 s2, s2, s4
	v_addc_co_u32_e32 v3, vcc, 0, v3, vcc
	v_mov_b32_e32 v4, s2
	s_addc_u32 s3, 0, s3
	v_add_co_u32_e32 v4, vcc, s0, v4
	v_ashrrev_i32_e32 v6, 31, v3
	s_cmp_lg_u64 vcc, 0
	v_add_co_u32_e32 v2, vcc, v2, v6
	s_addc_u32 s2, s1, s3
	v_addc_co_u32_e32 v3, vcc, v3, v6, vcc
	v_xor_b32_e32 v8, v2, v6
	v_xor_b32_e32 v7, v3, v6
	v_mad_u64_u32 v[2:3], s[0:1], v8, s2, 0
	v_mul_hi_u32 v5, v8, v4
	v_add_co_u32_e32 v9, vcc, v5, v2
	v_addc_co_u32_e32 v10, vcc, 0, v3, vcc
	v_mad_u64_u32 v[4:5], s[0:1], v7, v4, 0
	v_add_co_u32_e32 v4, vcc, v9, v4
	v_mad_u64_u32 v[2:3], s[0:1], v7, s2, 0
	v_addc_co_u32_e32 v4, vcc, v10, v5, vcc
	v_addc_co_u32_e32 v3, vcc, 0, v3, vcc
	v_add_co_u32_e32 v9, vcc, v4, v2
	v_addc_co_u32_e32 v10, vcc, 0, v3, vcc
	v_mad_u64_u32 v[2:3], s[0:1], v9, 10, 0
	v_mov_b32_e32 v4, v3
	v_mad_u64_u32 v[4:5], s[0:1], v10, 10, v[4:5]
	v_sub_co_u32_e32 v2, vcc, v8, v2
	v_subb_co_u32_e32 v3, vcc, v7, v4, vcc
	v_subrev_co_u32_e32 v4, vcc, 10, v2
	v_subbrev_co_u32_e32 v5, vcc, 0, v3, vcc
	v_cmp_lt_u32_e32 vcc, 9, v4
	v_cndmask_b32_e64 v4, 0, -1, vcc
	v_cmp_eq_u32_e32 vcc, 0, v5
	v_cndmask_b32_e32 v4, -1, v4, vcc
	v_add_co_u32_e32 v5, vcc, 2, v9
	v_addc_co_u32_e32 v7, vcc, 0, v10, vcc
	v_add_co_u32_e32 v8, vcc, 1, v9
	v_cmp_lt_u32_e64 s[0:1], 9, v2
	v_addc_co_u32_e32 v11, vcc, 0, v10, vcc
	v_cndmask_b32_e64 v2, 0, -1, s[0:1]
	v_cmp_eq_u32_e64 s[0:1], 0, v3
	v_cmp_ne_u32_e32 vcc, 0, v4
	v_cndmask_b32_e64 v2, -1, v2, s[0:1]
	v_cndmask_b32_e32 v4, v11, v7, vcc
	v_cmp_ne_u32_e64 s[0:1], 0, v2
	v_cndmask_b32_e32 v3, v8, v5, vcc
	v_cndmask_b32_e64 v2, v10, v4, s[0:1]
	v_cndmask_b32_e64 v3, v9, v3, s[0:1]
	v_xor_b32_e32 v4, v2, v6
	v_xor_b32_e32 v2, v3, v6
	v_sub_co_u32_e32 v2, vcc, v2, v6
	v_subb_co_u32_e32 v3, vcc, v4, v6, vcc
	v_mov_b32_e32 v4, s9
	v_add_co_u32_e32 v0, vcc, s8, v0
	v_addc_co_u32_e32 v1, vcc, v4, v1, vcc
	global_store_dwordx2 v[0:1], v[2:3], off
.LBB96_4:
	s_endpgm
	.section	.rodata,"a",@progbits
	.p2align	6, 0x0
	.amdhsa_kernel _ZN2at6native12_GLOBAL__N_124krn_partials_per_segmentIlEEvPT_PKS3_PKll
		.amdhsa_group_segment_fixed_size 0
		.amdhsa_private_segment_fixed_size 0
		.amdhsa_kernarg_size 288
		.amdhsa_user_sgpr_count 6
		.amdhsa_user_sgpr_private_segment_buffer 1
		.amdhsa_user_sgpr_dispatch_ptr 0
		.amdhsa_user_sgpr_queue_ptr 0
		.amdhsa_user_sgpr_kernarg_segment_ptr 1
		.amdhsa_user_sgpr_dispatch_id 0
		.amdhsa_user_sgpr_flat_scratch_init 0
		.amdhsa_user_sgpr_kernarg_preload_length 0
		.amdhsa_user_sgpr_kernarg_preload_offset 0
		.amdhsa_user_sgpr_private_segment_size 0
		.amdhsa_uses_dynamic_stack 0
		.amdhsa_system_sgpr_private_segment_wavefront_offset 0
		.amdhsa_system_sgpr_workgroup_id_x 1
		.amdhsa_system_sgpr_workgroup_id_y 0
		.amdhsa_system_sgpr_workgroup_id_z 0
		.amdhsa_system_sgpr_workgroup_info 0
		.amdhsa_system_vgpr_workitem_id 0
		.amdhsa_next_free_vgpr 12
		.amdhsa_next_free_sgpr 16
		.amdhsa_accum_offset 12
		.amdhsa_reserve_vcc 1
		.amdhsa_reserve_flat_scratch 0
		.amdhsa_float_round_mode_32 0
		.amdhsa_float_round_mode_16_64 0
		.amdhsa_float_denorm_mode_32 3
		.amdhsa_float_denorm_mode_16_64 3
		.amdhsa_dx10_clamp 1
		.amdhsa_ieee_mode 1
		.amdhsa_fp16_overflow 0
		.amdhsa_tg_split 0
		.amdhsa_exception_fp_ieee_invalid_op 0
		.amdhsa_exception_fp_denorm_src 0
		.amdhsa_exception_fp_ieee_div_zero 0
		.amdhsa_exception_fp_ieee_overflow 0
		.amdhsa_exception_fp_ieee_underflow 0
		.amdhsa_exception_fp_ieee_inexact 0
		.amdhsa_exception_int_div_zero 0
	.end_amdhsa_kernel
	.section	.text._ZN2at6native12_GLOBAL__N_124krn_partials_per_segmentIlEEvPT_PKS3_PKll,"axG",@progbits,_ZN2at6native12_GLOBAL__N_124krn_partials_per_segmentIlEEvPT_PKS3_PKll,comdat
.Lfunc_end96:
	.size	_ZN2at6native12_GLOBAL__N_124krn_partials_per_segmentIlEEvPT_PKS3_PKll, .Lfunc_end96-_ZN2at6native12_GLOBAL__N_124krn_partials_per_segmentIlEEvPT_PKS3_PKll
                                        ; -- End function
	.section	.AMDGPU.csdata,"",@progbits
; Kernel info:
; codeLenInByte = 528
; NumSgprs: 20
; NumVgprs: 12
; NumAgprs: 0
; TotalNumVgprs: 12
; ScratchSize: 0
; MemoryBound: 0
; FloatMode: 240
; IeeeMode: 1
; LDSByteSize: 0 bytes/workgroup (compile time only)
; SGPRBlocks: 2
; VGPRBlocks: 1
; NumSGPRsForWavesPerEU: 20
; NumVGPRsForWavesPerEU: 12
; AccumOffset: 12
; Occupancy: 8
; WaveLimiterHint : 0
; COMPUTE_PGM_RSRC2:SCRATCH_EN: 0
; COMPUTE_PGM_RSRC2:USER_SGPR: 6
; COMPUTE_PGM_RSRC2:TRAP_HANDLER: 0
; COMPUTE_PGM_RSRC2:TGID_X_EN: 1
; COMPUTE_PGM_RSRC2:TGID_Y_EN: 0
; COMPUTE_PGM_RSRC2:TGID_Z_EN: 0
; COMPUTE_PGM_RSRC2:TIDIG_COMP_CNT: 0
; COMPUTE_PGM_RSRC3_GFX90A:ACCUM_OFFSET: 2
; COMPUTE_PGM_RSRC3_GFX90A:TG_SPLIT: 0
	.section	.text._ZN2at6native12_GLOBAL__N_131compute_num_of_partial_segmentsIlEEvPKT_S5_PKlPl,"axG",@progbits,_ZN2at6native12_GLOBAL__N_131compute_num_of_partial_segmentsIlEEvPKT_S5_PKlPl,comdat
	.globl	_ZN2at6native12_GLOBAL__N_131compute_num_of_partial_segmentsIlEEvPKT_S5_PKlPl ; -- Begin function _ZN2at6native12_GLOBAL__N_131compute_num_of_partial_segmentsIlEEvPKT_S5_PKlPl
	.p2align	8
	.type	_ZN2at6native12_GLOBAL__N_131compute_num_of_partial_segmentsIlEEvPKT_S5_PKlPl,@function
_ZN2at6native12_GLOBAL__N_131compute_num_of_partial_segmentsIlEEvPKT_S5_PKlPl: ; @_ZN2at6native12_GLOBAL__N_131compute_num_of_partial_segmentsIlEEvPKT_S5_PKlPl
; %bb.0:
	s_load_dwordx8 s[0:7], s[4:5], 0x0
	v_mov_b32_e32 v2, 0
	s_waitcnt lgkmcnt(0)
	s_load_dwordx2 s[4:5], s[4:5], 0x0
	s_waitcnt lgkmcnt(0)
	s_lshl_b64 s[4:5], s[4:5], 3
	s_add_u32 s0, s0, s4
	s_addc_u32 s1, s1, s5
	s_add_u32 s0, s0, -8
	s_addc_u32 s1, s1, -1
	s_add_u32 s2, s2, s4
	s_addc_u32 s3, s3, s5
	s_add_u32 s2, s2, -8
	s_addc_u32 s3, s3, -1
	s_load_dwordx2 s[0:1], s[0:1], 0x0
	s_nop 0
	s_load_dwordx2 s[2:3], s[2:3], 0x0
	s_waitcnt lgkmcnt(0)
	s_add_u32 s0, s2, s0
	s_addc_u32 s1, s3, s1
	v_pk_mov_b32 v[0:1], s[0:1], s[0:1] op_sel:[0,1]
	global_store_dwordx2 v2, v[0:1], s[6:7]
	s_endpgm
	.section	.rodata,"a",@progbits
	.p2align	6, 0x0
	.amdhsa_kernel _ZN2at6native12_GLOBAL__N_131compute_num_of_partial_segmentsIlEEvPKT_S5_PKlPl
		.amdhsa_group_segment_fixed_size 0
		.amdhsa_private_segment_fixed_size 0
		.amdhsa_kernarg_size 32
		.amdhsa_user_sgpr_count 6
		.amdhsa_user_sgpr_private_segment_buffer 1
		.amdhsa_user_sgpr_dispatch_ptr 0
		.amdhsa_user_sgpr_queue_ptr 0
		.amdhsa_user_sgpr_kernarg_segment_ptr 1
		.amdhsa_user_sgpr_dispatch_id 0
		.amdhsa_user_sgpr_flat_scratch_init 0
		.amdhsa_user_sgpr_kernarg_preload_length 0
		.amdhsa_user_sgpr_kernarg_preload_offset 0
		.amdhsa_user_sgpr_private_segment_size 0
		.amdhsa_uses_dynamic_stack 0
		.amdhsa_system_sgpr_private_segment_wavefront_offset 0
		.amdhsa_system_sgpr_workgroup_id_x 1
		.amdhsa_system_sgpr_workgroup_id_y 0
		.amdhsa_system_sgpr_workgroup_id_z 0
		.amdhsa_system_sgpr_workgroup_info 0
		.amdhsa_system_vgpr_workitem_id 0
		.amdhsa_next_free_vgpr 3
		.amdhsa_next_free_sgpr 8
		.amdhsa_accum_offset 4
		.amdhsa_reserve_vcc 0
		.amdhsa_reserve_flat_scratch 0
		.amdhsa_float_round_mode_32 0
		.amdhsa_float_round_mode_16_64 0
		.amdhsa_float_denorm_mode_32 3
		.amdhsa_float_denorm_mode_16_64 3
		.amdhsa_dx10_clamp 1
		.amdhsa_ieee_mode 1
		.amdhsa_fp16_overflow 0
		.amdhsa_tg_split 0
		.amdhsa_exception_fp_ieee_invalid_op 0
		.amdhsa_exception_fp_denorm_src 0
		.amdhsa_exception_fp_ieee_div_zero 0
		.amdhsa_exception_fp_ieee_overflow 0
		.amdhsa_exception_fp_ieee_underflow 0
		.amdhsa_exception_fp_ieee_inexact 0
		.amdhsa_exception_int_div_zero 0
	.end_amdhsa_kernel
	.section	.text._ZN2at6native12_GLOBAL__N_131compute_num_of_partial_segmentsIlEEvPKT_S5_PKlPl,"axG",@progbits,_ZN2at6native12_GLOBAL__N_131compute_num_of_partial_segmentsIlEEvPKT_S5_PKlPl,comdat
.Lfunc_end97:
	.size	_ZN2at6native12_GLOBAL__N_131compute_num_of_partial_segmentsIlEEvPKT_S5_PKlPl, .Lfunc_end97-_ZN2at6native12_GLOBAL__N_131compute_num_of_partial_segmentsIlEEvPKT_S5_PKlPl
                                        ; -- End function
	.section	.AMDGPU.csdata,"",@progbits
; Kernel info:
; codeLenInByte = 116
; NumSgprs: 12
; NumVgprs: 3
; NumAgprs: 0
; TotalNumVgprs: 3
; ScratchSize: 0
; MemoryBound: 1
; FloatMode: 240
; IeeeMode: 1
; LDSByteSize: 0 bytes/workgroup (compile time only)
; SGPRBlocks: 1
; VGPRBlocks: 0
; NumSGPRsForWavesPerEU: 12
; NumVGPRsForWavesPerEU: 3
; AccumOffset: 4
; Occupancy: 8
; WaveLimiterHint : 1
; COMPUTE_PGM_RSRC2:SCRATCH_EN: 0
; COMPUTE_PGM_RSRC2:USER_SGPR: 6
; COMPUTE_PGM_RSRC2:TRAP_HANDLER: 0
; COMPUTE_PGM_RSRC2:TGID_X_EN: 1
; COMPUTE_PGM_RSRC2:TGID_Y_EN: 0
; COMPUTE_PGM_RSRC2:TGID_Z_EN: 0
; COMPUTE_PGM_RSRC2:TIDIG_COMP_CNT: 0
; COMPUTE_PGM_RSRC3_GFX90A:ACCUM_OFFSET: 0
; COMPUTE_PGM_RSRC3_GFX90A:TG_SPLIT: 0
	.section	.text._ZN2at6native12_GLOBAL__N_126krn_partial_segment_offsetIlEEvPT_PKS3_S6_S6_PKl,"axG",@progbits,_ZN2at6native12_GLOBAL__N_126krn_partial_segment_offsetIlEEvPT_PKS3_S6_S6_PKl,comdat
	.globl	_ZN2at6native12_GLOBAL__N_126krn_partial_segment_offsetIlEEvPT_PKS3_S6_S6_PKl ; -- Begin function _ZN2at6native12_GLOBAL__N_126krn_partial_segment_offsetIlEEvPT_PKS3_S6_S6_PKl
	.p2align	8
	.type	_ZN2at6native12_GLOBAL__N_126krn_partial_segment_offsetIlEEvPT_PKS3_S6_S6_PKl,@function
_ZN2at6native12_GLOBAL__N_126krn_partial_segment_offsetIlEEvPT_PKS3_S6_S6_PKl: ; @_ZN2at6native12_GLOBAL__N_126krn_partial_segment_offsetIlEEvPT_PKS3_S6_S6_PKl
; %bb.0:
	s_load_dwordx2 s[0:1], s[4:5], 0x20
	s_load_dword s2, s[4:5], 0x34
	s_waitcnt lgkmcnt(0)
	s_and_b32 s2, s2, 0xffff
	s_load_dwordx2 s[0:1], s[0:1], 0x0
	s_mul_i32 s6, s6, s2
	v_add_u32_e32 v0, s6, v0
	v_ashrrev_i32_e32 v1, 31, v0
	s_waitcnt lgkmcnt(0)
	v_cmp_gt_i64_e32 vcc, s[0:1], v[0:1]
	s_and_saveexec_b64 s[0:1], vcc
	s_cbranch_execz .LBB98_4
; %bb.1:
	s_load_dwordx8 s[0:7], s[4:5], 0x0
	v_lshlrev_b64 v[2:3], 3, v[0:1]
	s_waitcnt lgkmcnt(0)
	v_mov_b32_e32 v1, s3
	v_add_co_u32_e32 v0, vcc, s2, v2
	v_addc_co_u32_e32 v1, vcc, v1, v3, vcc
	global_load_dwordx2 v[0:1], v[0:1], off
	s_mov_b64 s[2:3], 0
	s_waitcnt vmcnt(0)
	v_cmp_lt_i64_e32 vcc, 0, v[0:1]
	s_and_b64 exec, exec, vcc
	s_cbranch_execz .LBB98_4
; %bb.2:
	v_mov_b32_e32 v5, s5
	v_add_co_u32_e32 v4, vcc, s4, v2
	v_addc_co_u32_e32 v5, vcc, v5, v3, vcc
	global_load_dwordx2 v[4:5], v[4:5], off
	v_mov_b32_e32 v6, s7
	v_add_co_u32_e32 v2, vcc, s6, v2
	v_addc_co_u32_e32 v3, vcc, v6, v3, vcc
	global_load_dwordx2 v[2:3], v[2:3], off
	v_mov_b32_e32 v6, s1
	s_waitcnt vmcnt(1)
	v_lshlrev_b64 v[4:5], 3, v[4:5]
	v_add_co_u32_e32 v4, vcc, s0, v4
	v_addc_co_u32_e32 v5, vcc, v6, v5, vcc
	s_waitcnt vmcnt(0)
.LBB98_3:                               ; =>This Inner Loop Header: Depth=1
	v_add_co_u32_e32 v0, vcc, -1, v0
	v_addc_co_u32_e32 v1, vcc, -1, v1, vcc
	global_store_dwordx2 v[4:5], v[2:3], off
	v_add_co_u32_e32 v2, vcc, 10, v2
	v_addc_co_u32_e32 v3, vcc, 0, v3, vcc
	v_add_co_u32_e32 v4, vcc, 8, v4
	v_cmp_eq_u64_e64 s[0:1], 0, v[0:1]
	s_or_b64 s[2:3], s[0:1], s[2:3]
	v_addc_co_u32_e32 v5, vcc, 0, v5, vcc
	s_andn2_b64 exec, exec, s[2:3]
	s_cbranch_execnz .LBB98_3
.LBB98_4:
	s_endpgm
	.section	.rodata,"a",@progbits
	.p2align	6, 0x0
	.amdhsa_kernel _ZN2at6native12_GLOBAL__N_126krn_partial_segment_offsetIlEEvPT_PKS3_S6_S6_PKl
		.amdhsa_group_segment_fixed_size 0
		.amdhsa_private_segment_fixed_size 0
		.amdhsa_kernarg_size 296
		.amdhsa_user_sgpr_count 6
		.amdhsa_user_sgpr_private_segment_buffer 1
		.amdhsa_user_sgpr_dispatch_ptr 0
		.amdhsa_user_sgpr_queue_ptr 0
		.amdhsa_user_sgpr_kernarg_segment_ptr 1
		.amdhsa_user_sgpr_dispatch_id 0
		.amdhsa_user_sgpr_flat_scratch_init 0
		.amdhsa_user_sgpr_kernarg_preload_length 0
		.amdhsa_user_sgpr_kernarg_preload_offset 0
		.amdhsa_user_sgpr_private_segment_size 0
		.amdhsa_uses_dynamic_stack 0
		.amdhsa_system_sgpr_private_segment_wavefront_offset 0
		.amdhsa_system_sgpr_workgroup_id_x 1
		.amdhsa_system_sgpr_workgroup_id_y 0
		.amdhsa_system_sgpr_workgroup_id_z 0
		.amdhsa_system_sgpr_workgroup_info 0
		.amdhsa_system_vgpr_workitem_id 0
		.amdhsa_next_free_vgpr 7
		.amdhsa_next_free_sgpr 8
		.amdhsa_accum_offset 8
		.amdhsa_reserve_vcc 1
		.amdhsa_reserve_flat_scratch 0
		.amdhsa_float_round_mode_32 0
		.amdhsa_float_round_mode_16_64 0
		.amdhsa_float_denorm_mode_32 3
		.amdhsa_float_denorm_mode_16_64 3
		.amdhsa_dx10_clamp 1
		.amdhsa_ieee_mode 1
		.amdhsa_fp16_overflow 0
		.amdhsa_tg_split 0
		.amdhsa_exception_fp_ieee_invalid_op 0
		.amdhsa_exception_fp_denorm_src 0
		.amdhsa_exception_fp_ieee_div_zero 0
		.amdhsa_exception_fp_ieee_overflow 0
		.amdhsa_exception_fp_ieee_underflow 0
		.amdhsa_exception_fp_ieee_inexact 0
		.amdhsa_exception_int_div_zero 0
	.end_amdhsa_kernel
	.section	.text._ZN2at6native12_GLOBAL__N_126krn_partial_segment_offsetIlEEvPT_PKS3_S6_S6_PKl,"axG",@progbits,_ZN2at6native12_GLOBAL__N_126krn_partial_segment_offsetIlEEvPT_PKS3_S6_S6_PKl,comdat
.Lfunc_end98:
	.size	_ZN2at6native12_GLOBAL__N_126krn_partial_segment_offsetIlEEvPT_PKS3_S6_S6_PKl, .Lfunc_end98-_ZN2at6native12_GLOBAL__N_126krn_partial_segment_offsetIlEEvPT_PKS3_S6_S6_PKl
                                        ; -- End function
	.section	.AMDGPU.csdata,"",@progbits
; Kernel info:
; codeLenInByte = 248
; NumSgprs: 12
; NumVgprs: 7
; NumAgprs: 0
; TotalNumVgprs: 7
; ScratchSize: 0
; MemoryBound: 0
; FloatMode: 240
; IeeeMode: 1
; LDSByteSize: 0 bytes/workgroup (compile time only)
; SGPRBlocks: 1
; VGPRBlocks: 0
; NumSGPRsForWavesPerEU: 12
; NumVGPRsForWavesPerEU: 7
; AccumOffset: 8
; Occupancy: 8
; WaveLimiterHint : 0
; COMPUTE_PGM_RSRC2:SCRATCH_EN: 0
; COMPUTE_PGM_RSRC2:USER_SGPR: 6
; COMPUTE_PGM_RSRC2:TRAP_HANDLER: 0
; COMPUTE_PGM_RSRC2:TGID_X_EN: 1
; COMPUTE_PGM_RSRC2:TGID_Y_EN: 0
; COMPUTE_PGM_RSRC2:TGID_Z_EN: 0
; COMPUTE_PGM_RSRC2:TIDIG_COMP_CNT: 0
; COMPUTE_PGM_RSRC3_GFX90A:ACCUM_OFFSET: 1
; COMPUTE_PGM_RSRC3_GFX90A:TG_SPLIT: 0
	.section	.text._ZN2at6native12_GLOBAL__N_126krn_partial_to_segment_idxIlEEvPT_PKS3_S6_PKl,"axG",@progbits,_ZN2at6native12_GLOBAL__N_126krn_partial_to_segment_idxIlEEvPT_PKS3_S6_PKl,comdat
	.globl	_ZN2at6native12_GLOBAL__N_126krn_partial_to_segment_idxIlEEvPT_PKS3_S6_PKl ; -- Begin function _ZN2at6native12_GLOBAL__N_126krn_partial_to_segment_idxIlEEvPT_PKS3_S6_PKl
	.p2align	8
	.type	_ZN2at6native12_GLOBAL__N_126krn_partial_to_segment_idxIlEEvPT_PKS3_S6_PKl,@function
_ZN2at6native12_GLOBAL__N_126krn_partial_to_segment_idxIlEEvPT_PKS3_S6_PKl: ; @_ZN2at6native12_GLOBAL__N_126krn_partial_to_segment_idxIlEEvPT_PKS3_S6_PKl
; %bb.0:
	s_load_dwordx8 s[8:15], s[4:5], 0x0
	s_load_dword s2, s[4:5], 0x2c
	s_waitcnt lgkmcnt(0)
	s_and_b32 s2, s2, 0xffff
	s_load_dwordx2 s[0:1], s[14:15], 0x0
	s_mul_i32 s6, s6, s2
	v_add_u32_e32 v0, s6, v0
	v_ashrrev_i32_e32 v1, 31, v0
	s_waitcnt lgkmcnt(0)
	v_cmp_gt_i64_e32 vcc, s[0:1], v[0:1]
	s_and_saveexec_b64 s[0:1], vcc
	s_cbranch_execz .LBB99_4
; %bb.1:
	v_lshlrev_b64 v[4:5], 3, v[0:1]
	v_mov_b32_e32 v3, s11
	v_add_co_u32_e32 v2, vcc, s10, v4
	v_addc_co_u32_e32 v3, vcc, v3, v5, vcc
	global_load_dwordx2 v[2:3], v[2:3], off
	s_mov_b64 s[2:3], 0
	s_waitcnt vmcnt(0)
	v_cmp_lt_i64_e32 vcc, 0, v[2:3]
	s_and_b64 exec, exec, vcc
	s_cbranch_execz .LBB99_4
; %bb.2:
	v_mov_b32_e32 v6, s13
	v_add_co_u32_e32 v4, vcc, s12, v4
	v_addc_co_u32_e32 v5, vcc, v6, v5, vcc
	global_load_dwordx2 v[4:5], v[4:5], off
	v_mov_b32_e32 v6, s9
	s_waitcnt vmcnt(0)
	v_lshlrev_b64 v[4:5], 3, v[4:5]
	v_add_co_u32_e32 v4, vcc, s8, v4
	v_addc_co_u32_e32 v5, vcc, v6, v5, vcc
.LBB99_3:                               ; =>This Inner Loop Header: Depth=1
	v_add_co_u32_e32 v2, vcc, -1, v2
	v_addc_co_u32_e32 v3, vcc, -1, v3, vcc
	global_store_dwordx2 v[4:5], v[0:1], off
	v_add_co_u32_e32 v4, vcc, 8, v4
	v_cmp_eq_u64_e64 s[0:1], 0, v[2:3]
	s_or_b64 s[2:3], s[0:1], s[2:3]
	v_addc_co_u32_e32 v5, vcc, 0, v5, vcc
	s_andn2_b64 exec, exec, s[2:3]
	s_cbranch_execnz .LBB99_3
.LBB99_4:
	s_endpgm
	.section	.rodata,"a",@progbits
	.p2align	6, 0x0
	.amdhsa_kernel _ZN2at6native12_GLOBAL__N_126krn_partial_to_segment_idxIlEEvPT_PKS3_S6_PKl
		.amdhsa_group_segment_fixed_size 0
		.amdhsa_private_segment_fixed_size 0
		.amdhsa_kernarg_size 288
		.amdhsa_user_sgpr_count 6
		.amdhsa_user_sgpr_private_segment_buffer 1
		.amdhsa_user_sgpr_dispatch_ptr 0
		.amdhsa_user_sgpr_queue_ptr 0
		.amdhsa_user_sgpr_kernarg_segment_ptr 1
		.amdhsa_user_sgpr_dispatch_id 0
		.amdhsa_user_sgpr_flat_scratch_init 0
		.amdhsa_user_sgpr_kernarg_preload_length 0
		.amdhsa_user_sgpr_kernarg_preload_offset 0
		.amdhsa_user_sgpr_private_segment_size 0
		.amdhsa_uses_dynamic_stack 0
		.amdhsa_system_sgpr_private_segment_wavefront_offset 0
		.amdhsa_system_sgpr_workgroup_id_x 1
		.amdhsa_system_sgpr_workgroup_id_y 0
		.amdhsa_system_sgpr_workgroup_id_z 0
		.amdhsa_system_sgpr_workgroup_info 0
		.amdhsa_system_vgpr_workitem_id 0
		.amdhsa_next_free_vgpr 7
		.amdhsa_next_free_sgpr 16
		.amdhsa_accum_offset 8
		.amdhsa_reserve_vcc 1
		.amdhsa_reserve_flat_scratch 0
		.amdhsa_float_round_mode_32 0
		.amdhsa_float_round_mode_16_64 0
		.amdhsa_float_denorm_mode_32 3
		.amdhsa_float_denorm_mode_16_64 3
		.amdhsa_dx10_clamp 1
		.amdhsa_ieee_mode 1
		.amdhsa_fp16_overflow 0
		.amdhsa_tg_split 0
		.amdhsa_exception_fp_ieee_invalid_op 0
		.amdhsa_exception_fp_denorm_src 0
		.amdhsa_exception_fp_ieee_div_zero 0
		.amdhsa_exception_fp_ieee_overflow 0
		.amdhsa_exception_fp_ieee_underflow 0
		.amdhsa_exception_fp_ieee_inexact 0
		.amdhsa_exception_int_div_zero 0
	.end_amdhsa_kernel
	.section	.text._ZN2at6native12_GLOBAL__N_126krn_partial_to_segment_idxIlEEvPT_PKS3_S6_PKl,"axG",@progbits,_ZN2at6native12_GLOBAL__N_126krn_partial_to_segment_idxIlEEvPT_PKS3_S6_PKl,comdat
.Lfunc_end99:
	.size	_ZN2at6native12_GLOBAL__N_126krn_partial_to_segment_idxIlEEvPT_PKS3_S6_PKl, .Lfunc_end99-_ZN2at6native12_GLOBAL__N_126krn_partial_to_segment_idxIlEEvPT_PKS3_S6_PKl
                                        ; -- End function
	.section	.AMDGPU.csdata,"",@progbits
; Kernel info:
; codeLenInByte = 204
; NumSgprs: 20
; NumVgprs: 7
; NumAgprs: 0
; TotalNumVgprs: 7
; ScratchSize: 0
; MemoryBound: 0
; FloatMode: 240
; IeeeMode: 1
; LDSByteSize: 0 bytes/workgroup (compile time only)
; SGPRBlocks: 2
; VGPRBlocks: 0
; NumSGPRsForWavesPerEU: 20
; NumVGPRsForWavesPerEU: 7
; AccumOffset: 8
; Occupancy: 8
; WaveLimiterHint : 0
; COMPUTE_PGM_RSRC2:SCRATCH_EN: 0
; COMPUTE_PGM_RSRC2:USER_SGPR: 6
; COMPUTE_PGM_RSRC2:TRAP_HANDLER: 0
; COMPUTE_PGM_RSRC2:TGID_X_EN: 1
; COMPUTE_PGM_RSRC2:TGID_Y_EN: 0
; COMPUTE_PGM_RSRC2:TGID_Z_EN: 0
; COMPUTE_PGM_RSRC2:TIDIG_COMP_CNT: 0
; COMPUTE_PGM_RSRC3_GFX90A:ACCUM_OFFSET: 1
; COMPUTE_PGM_RSRC3_GFX90A:TG_SPLIT: 0
	.section	.text._ZN2at6native12_GLOBAL__N_137compute_grad_weight_atomic_accumulateIddlEEvPKT1_PKT_S5_llS5_PKlS5_S5_S5_PT0_ll,"axG",@progbits,_ZN2at6native12_GLOBAL__N_137compute_grad_weight_atomic_accumulateIddlEEvPKT1_PKT_S5_llS5_PKlS5_S5_S5_PT0_ll,comdat
	.globl	_ZN2at6native12_GLOBAL__N_137compute_grad_weight_atomic_accumulateIddlEEvPKT1_PKT_S5_llS5_PKlS5_S5_S5_PT0_ll ; -- Begin function _ZN2at6native12_GLOBAL__N_137compute_grad_weight_atomic_accumulateIddlEEvPKT1_PKT_S5_llS5_PKlS5_S5_S5_PT0_ll
	.p2align	8
	.type	_ZN2at6native12_GLOBAL__N_137compute_grad_weight_atomic_accumulateIddlEEvPKT1_PKT_S5_llS5_PKlS5_S5_S5_PT0_ll,@function
_ZN2at6native12_GLOBAL__N_137compute_grad_weight_atomic_accumulateIddlEEvPKT1_PKT_S5_llS5_PKlS5_S5_S5_PT0_ll: ; @_ZN2at6native12_GLOBAL__N_137compute_grad_weight_atomic_accumulateIddlEEvPKT1_PKT_S5_llS5_PKlS5_S5_S5_PT0_ll
; %bb.0:
	s_load_dword s0, s[4:5], 0x74
	s_load_dwordx2 s[2:3], s[4:5], 0x60
	v_mov_b32_e32 v2, 0
	s_waitcnt lgkmcnt(0)
	s_and_b32 s0, s0, 0xffff
	s_mul_i32 s6, s6, s0
	v_add_u32_e32 v0, s6, v0
	v_ashrrev_i32_e32 v1, 31, v0
	v_or_b32_e32 v3, s3, v1
	v_cmp_ne_u64_e32 vcc, 0, v[2:3]
                                        ; implicit-def: $vgpr2_vgpr3
	s_and_saveexec_b64 s[0:1], vcc
	s_xor_b64 s[6:7], exec, s[0:1]
	s_cbranch_execz .LBB100_2
; %bb.1:
	s_ashr_i32 s8, s3, 31
	s_add_u32 s0, s2, s8
	s_mov_b32 s9, s8
	s_addc_u32 s1, s3, s8
	s_xor_b64 s[10:11], s[0:1], s[8:9]
	v_cvt_f32_u32_e32 v2, s10
	v_cvt_f32_u32_e32 v3, s11
	s_sub_u32 s0, 0, s10
	s_subb_u32 s1, 0, s11
	v_madmk_f32 v2, v3, 0x4f800000, v2
	v_rcp_f32_e32 v2, v2
	v_mul_f32_e32 v2, 0x5f7ffffc, v2
	v_mul_f32_e32 v3, 0x2f800000, v2
	v_trunc_f32_e32 v3, v3
	v_madmk_f32 v2, v3, 0xcf800000, v2
	v_cvt_u32_f32_e32 v3, v3
	v_cvt_u32_f32_e32 v2, v2
	v_mul_lo_u32 v4, s0, v3
	v_mul_hi_u32 v6, s0, v2
	v_mul_lo_u32 v5, s1, v2
	v_add_u32_e32 v4, v6, v4
	v_mul_lo_u32 v7, s0, v2
	v_add_u32_e32 v4, v4, v5
	v_mul_lo_u32 v6, v2, v4
	v_mul_hi_u32 v8, v2, v7
	v_mul_hi_u32 v5, v2, v4
	v_add_co_u32_e32 v6, vcc, v8, v6
	v_addc_co_u32_e32 v5, vcc, 0, v5, vcc
	v_mul_hi_u32 v9, v3, v7
	v_mul_lo_u32 v7, v3, v7
	v_add_co_u32_e32 v6, vcc, v6, v7
	v_mul_hi_u32 v8, v3, v4
	v_addc_co_u32_e32 v5, vcc, v5, v9, vcc
	v_addc_co_u32_e32 v6, vcc, 0, v8, vcc
	v_mul_lo_u32 v4, v3, v4
	v_add_co_u32_e32 v4, vcc, v5, v4
	v_addc_co_u32_e32 v5, vcc, 0, v6, vcc
	v_add_co_u32_e32 v2, vcc, v2, v4
	v_addc_co_u32_e32 v3, vcc, v3, v5, vcc
	v_mul_lo_u32 v4, s0, v3
	v_mul_hi_u32 v5, s0, v2
	v_add_u32_e32 v4, v5, v4
	v_mul_lo_u32 v5, s1, v2
	v_add_u32_e32 v4, v4, v5
	v_mul_lo_u32 v6, s0, v2
	v_mul_hi_u32 v7, v3, v6
	v_mul_lo_u32 v8, v3, v6
	v_mul_lo_u32 v10, v2, v4
	v_mul_hi_u32 v6, v2, v6
	v_mul_hi_u32 v9, v2, v4
	v_add_co_u32_e32 v6, vcc, v6, v10
	v_addc_co_u32_e32 v9, vcc, 0, v9, vcc
	v_add_co_u32_e32 v6, vcc, v6, v8
	v_mul_hi_u32 v5, v3, v4
	v_addc_co_u32_e32 v6, vcc, v9, v7, vcc
	v_addc_co_u32_e32 v5, vcc, 0, v5, vcc
	v_mul_lo_u32 v4, v3, v4
	v_add_co_u32_e32 v4, vcc, v6, v4
	v_addc_co_u32_e32 v5, vcc, 0, v5, vcc
	v_add_co_u32_e32 v6, vcc, v2, v4
	v_addc_co_u32_e32 v7, vcc, v3, v5, vcc
	v_mov_b32_e32 v2, v1
	v_mov_b32_e32 v3, v1
	v_add_co_u32_e32 v4, vcc, v0, v2
	v_addc_co_u32_e32 v5, vcc, v1, v3, vcc
	v_xor_b32_e32 v9, v4, v2
	v_xor_b32_e32 v8, v5, v3
	v_mad_u64_u32 v[4:5], s[0:1], v9, v7, 0
	v_mul_hi_u32 v10, v9, v6
	v_add_co_u32_e32 v10, vcc, v10, v4
	v_addc_co_u32_e32 v11, vcc, 0, v5, vcc
	v_mad_u64_u32 v[4:5], s[0:1], v8, v7, 0
	v_mad_u64_u32 v[6:7], s[0:1], v8, v6, 0
	v_add_co_u32_e32 v6, vcc, v10, v6
	v_addc_co_u32_e32 v6, vcc, v11, v7, vcc
	v_addc_co_u32_e32 v5, vcc, 0, v5, vcc
	v_add_co_u32_e32 v6, vcc, v6, v4
	v_addc_co_u32_e32 v7, vcc, 0, v5, vcc
	v_mul_lo_u32 v10, s11, v6
	v_mul_lo_u32 v11, s10, v7
	v_mad_u64_u32 v[4:5], s[0:1], s10, v6, 0
	v_add3_u32 v5, v5, v11, v10
	v_sub_u32_e32 v10, v8, v5
	v_mov_b32_e32 v11, s11
	v_sub_co_u32_e32 v4, vcc, v9, v4
	v_subb_co_u32_e64 v9, s[0:1], v10, v11, vcc
	v_subrev_co_u32_e64 v10, s[0:1], s10, v4
	v_subbrev_co_u32_e64 v9, s[0:1], 0, v9, s[0:1]
	v_cmp_le_u32_e64 s[0:1], s11, v9
	v_cndmask_b32_e64 v11, 0, -1, s[0:1]
	v_cmp_le_u32_e64 s[0:1], s10, v10
	v_cndmask_b32_e64 v10, 0, -1, s[0:1]
	v_cmp_eq_u32_e64 s[0:1], s11, v9
	v_cndmask_b32_e64 v9, v11, v10, s[0:1]
	v_add_co_u32_e64 v10, s[0:1], 2, v6
	v_subb_co_u32_e32 v5, vcc, v8, v5, vcc
	v_addc_co_u32_e64 v11, s[0:1], 0, v7, s[0:1]
	v_cmp_le_u32_e32 vcc, s11, v5
	v_add_co_u32_e64 v12, s[0:1], 1, v6
	v_cndmask_b32_e64 v8, 0, -1, vcc
	v_cmp_le_u32_e32 vcc, s10, v4
	v_addc_co_u32_e64 v13, s[0:1], 0, v7, s[0:1]
	v_cndmask_b32_e64 v4, 0, -1, vcc
	v_cmp_eq_u32_e32 vcc, s11, v5
	v_cmp_ne_u32_e64 s[0:1], 0, v9
	v_cndmask_b32_e32 v4, v8, v4, vcc
	v_cmp_ne_u32_e32 vcc, 0, v4
	v_cndmask_b32_e64 v5, v12, v10, s[0:1]
	v_cndmask_b32_e64 v9, v13, v11, s[0:1]
	v_cndmask_b32_e32 v5, v6, v5, vcc
	v_xor_b32_e32 v2, s8, v2
	v_cndmask_b32_e32 v4, v7, v9, vcc
	v_xor_b32_e32 v3, s8, v3
	v_xor_b32_e32 v5, v5, v2
	;; [unrolled: 1-line block ×3, first 2 shown]
	v_sub_co_u32_e32 v2, vcc, v5, v2
	v_subb_co_u32_e32 v3, vcc, v4, v3, vcc
.LBB100_2:
	s_or_saveexec_b64 s[0:1], s[6:7]
	s_load_dwordx16 s[8:23], s[4:5], 0x0
	s_xor_b64 exec, exec, s[0:1]
	s_cbranch_execz .LBB100_4
; %bb.3:
	v_cvt_f32_u32_e32 v2, s2
	s_sub_i32 s6, 0, s2
	v_rcp_iflag_f32_e32 v2, v2
	v_mul_f32_e32 v2, 0x4f7ffffe, v2
	v_cvt_u32_f32_e32 v2, v2
	v_mul_lo_u32 v3, s6, v2
	v_mul_hi_u32 v3, v2, v3
	v_add_u32_e32 v2, v2, v3
	v_mul_hi_u32 v2, v0, v2
	v_mul_lo_u32 v3, v2, s2
	v_sub_u32_e32 v3, v0, v3
	v_add_u32_e32 v4, 1, v2
	v_subrev_u32_e32 v5, s2, v3
	v_cmp_le_u32_e32 vcc, s2, v3
	v_cndmask_b32_e32 v3, v3, v5, vcc
	v_cndmask_b32_e32 v2, v2, v4, vcc
	v_add_u32_e32 v4, 1, v2
	v_cmp_le_u32_e32 vcc, s2, v3
	v_cndmask_b32_e32 v2, v2, v4, vcc
	v_mov_b32_e32 v3, 0
.LBB100_4:
	s_or_b64 exec, exec, s[0:1]
	v_mul_lo_u32 v3, v3, s2
	v_mul_lo_u32 v6, v2, s3
	v_mad_u64_u32 v[4:5], s[0:1], v2, s2, 0
	v_add3_u32 v3, v5, v6, v3
	v_sub_co_u32_e32 v10, vcc, v0, v4
	v_subb_co_u32_e32 v11, vcc, v1, v3, vcc
	s_waitcnt lgkmcnt(0)
	v_cmp_gt_i64_e32 vcc, s[16:17], v[10:11]
	s_and_saveexec_b64 s[0:1], vcc
	s_cbranch_execz .LBB100_17
; %bb.5:
	s_load_dwordx2 s[0:1], s[20:21], 0x0
	v_ashrrev_i32_e32 v3, 31, v2
	s_waitcnt lgkmcnt(0)
	v_cmp_gt_i64_e32 vcc, s[0:1], v[2:3]
	s_and_b64 exec, exec, vcc
	s_cbranch_execz .LBB100_17
; %bb.6:
	v_lshlrev_b64 v[0:1], 3, v[2:3]
	v_mov_b32_e32 v5, s19
	v_add_co_u32_e32 v4, vcc, s18, v0
	v_addc_co_u32_e32 v5, vcc, v5, v1, vcc
	global_load_dwordx2 v[6:7], v[4:5], off
	s_load_dwordx8 s[24:31], s[4:5], 0x40
	s_add_u32 s0, s0, -1
	s_addc_u32 s1, s1, -1
	v_cmp_ne_u64_e32 vcc, s[0:1], v[2:3]
	v_pk_mov_b32 v[8:9], s[14:15], s[14:15] op_sel:[0,1]
	s_and_saveexec_b64 s[0:1], vcc
	s_cbranch_execz .LBB100_8
; %bb.7:
	v_mov_b32_e32 v3, v2
	v_add_co_u32_e64 v2, vcc, 0, 0
	v_addc_co_u32_e32 v3, vcc, 1, v3, vcc
	v_ashrrev_i64 v[2:3], 29, v[2:3]
	v_mov_b32_e32 v4, s19
	v_add_co_u32_e32 v2, vcc, s18, v2
	v_addc_co_u32_e32 v3, vcc, v4, v3, vcc
	global_load_dwordx2 v[8:9], v[2:3], off
.LBB100_8:
	s_or_b64 exec, exec, s[0:1]
	s_waitcnt vmcnt(0)
	v_cmp_lt_i64_e32 vcc, v[6:7], v[8:9]
	v_pk_mov_b32 v[4:5], 0, 0
	v_lshlrev_b64 v[2:3], 3, v[10:11]
	s_and_saveexec_b64 s[2:3], vcc
	s_cbranch_execz .LBB100_15
; %bb.9:
	v_mov_b32_e32 v4, s11
	v_add_co_u32_e32 v18, vcc, s10, v2
	v_addc_co_u32_e32 v19, vcc, v4, v3, vcc
	v_lshlrev_b64 v[4:5], 3, v[6:7]
	s_cmp_lg_u64 s[12:13], 0
	v_mov_b32_e32 v11, s13
	v_add_co_u32_e32 v10, vcc, s12, v4
	v_addc_co_u32_e32 v11, vcc, v11, v5, vcc
	s_cselect_b64 s[0:1], -1, 0
	v_mov_b32_e32 v13, s9
	v_add_co_u32_e32 v12, vcc, s8, v4
	v_cndmask_b32_e64 v14, 0, 1, s[0:1]
	s_mov_b64 s[4:5], 0
	v_addc_co_u32_e32 v13, vcc, v13, v5, vcc
	v_pk_mov_b32 v[4:5], 0, 0
	v_cmp_ne_u32_e64 s[0:1], 1, v14
	s_branch .LBB100_12
.LBB100_10:                             ;   in Loop: Header=BB100_12 Depth=1
	global_load_dwordx2 v[16:17], v[10:11], off
	s_waitcnt vmcnt(0)
	v_cvt_f64_i32_e32 v[20:21], v17
	v_cvt_f64_u32_e32 v[16:17], v16
	v_ldexp_f64 v[20:21], v[20:21], 32
	v_add_f64 v[16:17], v[20:21], v[16:17]
	v_div_scale_f64 v[20:21], s[6:7], v[16:17], v[16:17], 1.0
	v_rcp_f64_e32 v[22:23], v[20:21]
	v_div_scale_f64 v[24:25], vcc, 1.0, v[16:17], 1.0
	v_fma_f64 v[26:27], -v[20:21], v[22:23], 1.0
	v_fmac_f64_e32 v[22:23], v[22:23], v[26:27]
	v_fma_f64 v[26:27], -v[20:21], v[22:23], 1.0
	v_fmac_f64_e32 v[22:23], v[22:23], v[26:27]
	v_mul_f64 v[26:27], v[24:25], v[22:23]
	v_fma_f64 v[20:21], -v[20:21], v[26:27], v[24:25]
	v_div_fmas_f64 v[20:21], v[20:21], v[22:23], v[26:27]
	v_div_fixup_f64 v[16:17], v[20:21], v[16:17], 1.0
.LBB100_11:                             ;   in Loop: Header=BB100_12 Depth=1
	s_waitcnt vmcnt(0)
	v_mul_lo_u32 v20, v15, s16
	v_mul_lo_u32 v21, v14, s17
	v_mad_u64_u32 v[14:15], s[6:7], v14, s16, 0
	v_add3_u32 v15, v15, v21, v20
	v_lshlrev_b64 v[14:15], 3, v[14:15]
	v_add_co_u32_e32 v14, vcc, v18, v14
	v_addc_co_u32_e32 v15, vcc, v19, v15, vcc
	global_load_dwordx2 v[14:15], v[14:15], off
	v_add_co_u32_e32 v6, vcc, 1, v6
	v_addc_co_u32_e32 v7, vcc, 0, v7, vcc
	v_add_co_u32_e32 v10, vcc, 8, v10
	v_addc_co_u32_e32 v11, vcc, 0, v11, vcc
	v_cmp_ge_i64_e32 vcc, v[6:7], v[8:9]
	s_or_b64 s[4:5], vcc, s[4:5]
	v_add_co_u32_e32 v12, vcc, 8, v12
	v_addc_co_u32_e32 v13, vcc, 0, v13, vcc
	s_waitcnt vmcnt(0)
	v_fmac_f64_e32 v[4:5], v[16:17], v[14:15]
	s_andn2_b64 exec, exec, s[4:5]
	s_cbranch_execz .LBB100_14
.LBB100_12:                             ; =>This Inner Loop Header: Depth=1
	global_load_dwordx2 v[14:15], v[12:13], off
	s_and_b64 vcc, exec, s[0:1]
	s_cbranch_vccz .LBB100_10
; %bb.13:                               ;   in Loop: Header=BB100_12 Depth=1
	v_mov_b32_e32 v16, 0
	v_mov_b32_e32 v17, 0x3ff00000
	s_branch .LBB100_11
.LBB100_14:
	s_or_b64 exec, exec, s[4:5]
.LBB100_15:
	s_or_b64 exec, exec, s[2:3]
	s_waitcnt lgkmcnt(0)
	v_mov_b32_e32 v6, s25
	v_add_co_u32_e32 v0, vcc, s24, v0
	v_addc_co_u32_e32 v1, vcc, v6, v1, vcc
	global_load_dwordx2 v[0:1], v[0:1], off
	v_mov_b32_e32 v6, s27
	s_waitcnt vmcnt(0)
	v_lshlrev_b64 v[0:1], 3, v[0:1]
	v_add_co_u32_e32 v0, vcc, s26, v0
	v_addc_co_u32_e32 v1, vcc, v6, v1, vcc
	global_load_dwordx2 v[0:1], v[0:1], off
	v_mov_b32_e32 v6, s23
	s_waitcnt vmcnt(0)
	v_lshlrev_b64 v[0:1], 3, v[0:1]
	v_add_co_u32_e32 v0, vcc, s22, v0
	v_addc_co_u32_e32 v1, vcc, v6, v1, vcc
	global_load_dwordx2 v[0:1], v[0:1], off
	s_waitcnt vmcnt(0)
	v_cmp_ne_u64_e32 vcc, s[30:31], v[0:1]
	s_and_b64 exec, exec, vcc
	s_cbranch_execz .LBB100_17
; %bb.16:
	v_mul_lo_u32 v6, v1, s16
	v_mul_lo_u32 v7, v0, s17
	v_mad_u64_u32 v[0:1], s[0:1], v0, s16, 0
	v_add3_u32 v1, v1, v7, v6
	v_lshlrev_b64 v[0:1], 3, v[0:1]
	v_mov_b32_e32 v6, s29
	v_add_co_u32_e32 v0, vcc, s28, v0
	v_addc_co_u32_e32 v1, vcc, v6, v1, vcc
	v_add_co_u32_e32 v0, vcc, v0, v2
	v_addc_co_u32_e32 v1, vcc, v1, v3, vcc
	global_atomic_add_f64 v[0:1], v[4:5], off
.LBB100_17:
	s_endpgm
	.section	.rodata,"a",@progbits
	.p2align	6, 0x0
	.amdhsa_kernel _ZN2at6native12_GLOBAL__N_137compute_grad_weight_atomic_accumulateIddlEEvPKT1_PKT_S5_llS5_PKlS5_S5_S5_PT0_ll
		.amdhsa_group_segment_fixed_size 0
		.amdhsa_private_segment_fixed_size 0
		.amdhsa_kernarg_size 360
		.amdhsa_user_sgpr_count 6
		.amdhsa_user_sgpr_private_segment_buffer 1
		.amdhsa_user_sgpr_dispatch_ptr 0
		.amdhsa_user_sgpr_queue_ptr 0
		.amdhsa_user_sgpr_kernarg_segment_ptr 1
		.amdhsa_user_sgpr_dispatch_id 0
		.amdhsa_user_sgpr_flat_scratch_init 0
		.amdhsa_user_sgpr_kernarg_preload_length 0
		.amdhsa_user_sgpr_kernarg_preload_offset 0
		.amdhsa_user_sgpr_private_segment_size 0
		.amdhsa_uses_dynamic_stack 0
		.amdhsa_system_sgpr_private_segment_wavefront_offset 0
		.amdhsa_system_sgpr_workgroup_id_x 1
		.amdhsa_system_sgpr_workgroup_id_y 0
		.amdhsa_system_sgpr_workgroup_id_z 0
		.amdhsa_system_sgpr_workgroup_info 0
		.amdhsa_system_vgpr_workitem_id 0
		.amdhsa_next_free_vgpr 28
		.amdhsa_next_free_sgpr 32
		.amdhsa_accum_offset 28
		.amdhsa_reserve_vcc 1
		.amdhsa_reserve_flat_scratch 0
		.amdhsa_float_round_mode_32 0
		.amdhsa_float_round_mode_16_64 0
		.amdhsa_float_denorm_mode_32 3
		.amdhsa_float_denorm_mode_16_64 3
		.amdhsa_dx10_clamp 1
		.amdhsa_ieee_mode 1
		.amdhsa_fp16_overflow 0
		.amdhsa_tg_split 0
		.amdhsa_exception_fp_ieee_invalid_op 0
		.amdhsa_exception_fp_denorm_src 0
		.amdhsa_exception_fp_ieee_div_zero 0
		.amdhsa_exception_fp_ieee_overflow 0
		.amdhsa_exception_fp_ieee_underflow 0
		.amdhsa_exception_fp_ieee_inexact 0
		.amdhsa_exception_int_div_zero 0
	.end_amdhsa_kernel
	.section	.text._ZN2at6native12_GLOBAL__N_137compute_grad_weight_atomic_accumulateIddlEEvPKT1_PKT_S5_llS5_PKlS5_S5_S5_PT0_ll,"axG",@progbits,_ZN2at6native12_GLOBAL__N_137compute_grad_weight_atomic_accumulateIddlEEvPKT1_PKT_S5_llS5_PKlS5_S5_S5_PT0_ll,comdat
.Lfunc_end100:
	.size	_ZN2at6native12_GLOBAL__N_137compute_grad_weight_atomic_accumulateIddlEEvPKT1_PKT_S5_llS5_PKlS5_S5_S5_PT0_ll, .Lfunc_end100-_ZN2at6native12_GLOBAL__N_137compute_grad_weight_atomic_accumulateIddlEEvPKT1_PKT_S5_llS5_PKlS5_S5_S5_PT0_ll
                                        ; -- End function
	.section	.AMDGPU.csdata,"",@progbits
; Kernel info:
; codeLenInByte = 1620
; NumSgprs: 36
; NumVgprs: 28
; NumAgprs: 0
; TotalNumVgprs: 28
; ScratchSize: 0
; MemoryBound: 0
; FloatMode: 240
; IeeeMode: 1
; LDSByteSize: 0 bytes/workgroup (compile time only)
; SGPRBlocks: 4
; VGPRBlocks: 3
; NumSGPRsForWavesPerEU: 36
; NumVGPRsForWavesPerEU: 28
; AccumOffset: 28
; Occupancy: 8
; WaveLimiterHint : 1
; COMPUTE_PGM_RSRC2:SCRATCH_EN: 0
; COMPUTE_PGM_RSRC2:USER_SGPR: 6
; COMPUTE_PGM_RSRC2:TRAP_HANDLER: 0
; COMPUTE_PGM_RSRC2:TGID_X_EN: 1
; COMPUTE_PGM_RSRC2:TGID_Y_EN: 0
; COMPUTE_PGM_RSRC2:TGID_Z_EN: 0
; COMPUTE_PGM_RSRC2:TIDIG_COMP_CNT: 0
; COMPUTE_PGM_RSRC3_GFX90A:ACCUM_OFFSET: 6
; COMPUTE_PGM_RSRC3_GFX90A:TG_SPLIT: 0
	.section	.text._ZN2at6native12_GLOBAL__N_124compute_grad_weight_bagsIdlEEvPKT0_PKT_S5_S5_lliS5_S8_lS5_PKlPNS_14AccumulateTypeIS6_Lb1EE4typeEl,"axG",@progbits,_ZN2at6native12_GLOBAL__N_124compute_grad_weight_bagsIdlEEvPKT0_PKT_S5_S5_lliS5_S8_lS5_PKlPNS_14AccumulateTypeIS6_Lb1EE4typeEl,comdat
	.globl	_ZN2at6native12_GLOBAL__N_124compute_grad_weight_bagsIdlEEvPKT0_PKT_S5_S5_lliS5_S8_lS5_PKlPNS_14AccumulateTypeIS6_Lb1EE4typeEl ; -- Begin function _ZN2at6native12_GLOBAL__N_124compute_grad_weight_bagsIdlEEvPKT0_PKT_S5_S5_lliS5_S8_lS5_PKlPNS_14AccumulateTypeIS6_Lb1EE4typeEl
	.p2align	8
	.type	_ZN2at6native12_GLOBAL__N_124compute_grad_weight_bagsIdlEEvPKT0_PKT_S5_S5_lliS5_S8_lS5_PKlPNS_14AccumulateTypeIS6_Lb1EE4typeEl,@function
_ZN2at6native12_GLOBAL__N_124compute_grad_weight_bagsIdlEEvPKT0_PKT_S5_S5_lliS5_S8_lS5_PKlPNS_14AccumulateTypeIS6_Lb1EE4typeEl: ; @_ZN2at6native12_GLOBAL__N_124compute_grad_weight_bagsIdlEEvPKT0_PKT_S5_S5_lliS5_S8_lS5_PKlPNS_14AccumulateTypeIS6_Lb1EE4typeEl
; %bb.0:
	s_load_dword s0, s[4:5], 0x7c
	s_load_dwordx4 s[24:27], s[4:5], 0x58
	s_load_dwordx2 s[2:3], s[4:5], 0x68
	v_mov_b32_e32 v1, 0
	v_mov_b32_e32 v2, s6
	s_waitcnt lgkmcnt(0)
	s_and_b32 s0, s0, 0xffff
	v_mad_u64_u32 v[2:3], s[0:1], s0, v2, v[0:1]
	v_or_b32_e32 v5, s3, v3
	v_mov_b32_e32 v4, v1
	v_cmp_ne_u64_e32 vcc, 0, v[4:5]
                                        ; implicit-def: $vgpr0_vgpr1
	s_and_saveexec_b64 s[0:1], vcc
	s_xor_b64 s[6:7], exec, s[0:1]
	s_cbranch_execz .LBB101_2
; %bb.1:
	s_ashr_i32 s8, s3, 31
	s_add_u32 s0, s2, s8
	s_mov_b32 s9, s8
	s_addc_u32 s1, s3, s8
	s_xor_b64 s[10:11], s[0:1], s[8:9]
	v_cvt_f32_u32_e32 v0, s10
	v_cvt_f32_u32_e32 v1, s11
	s_sub_u32 s0, 0, s10
	s_subb_u32 s1, 0, s11
	v_madmk_f32 v0, v1, 0x4f800000, v0
	v_rcp_f32_e32 v0, v0
	v_mul_f32_e32 v0, 0x5f7ffffc, v0
	v_mul_f32_e32 v1, 0x2f800000, v0
	v_trunc_f32_e32 v1, v1
	v_madmk_f32 v0, v1, 0xcf800000, v0
	v_cvt_u32_f32_e32 v1, v1
	v_cvt_u32_f32_e32 v0, v0
	v_mul_lo_u32 v4, s0, v1
	v_mul_hi_u32 v6, s0, v0
	v_mul_lo_u32 v5, s1, v0
	v_add_u32_e32 v4, v6, v4
	v_mul_lo_u32 v7, s0, v0
	v_add_u32_e32 v4, v4, v5
	v_mul_lo_u32 v6, v0, v4
	v_mul_hi_u32 v8, v0, v7
	v_mul_hi_u32 v5, v0, v4
	v_add_co_u32_e32 v6, vcc, v8, v6
	v_addc_co_u32_e32 v5, vcc, 0, v5, vcc
	v_mul_hi_u32 v9, v1, v7
	v_mul_lo_u32 v7, v1, v7
	v_add_co_u32_e32 v6, vcc, v6, v7
	v_mul_hi_u32 v8, v1, v4
	v_addc_co_u32_e32 v5, vcc, v5, v9, vcc
	v_addc_co_u32_e32 v6, vcc, 0, v8, vcc
	v_mul_lo_u32 v4, v1, v4
	v_add_co_u32_e32 v4, vcc, v5, v4
	v_addc_co_u32_e32 v5, vcc, 0, v6, vcc
	v_add_co_u32_e32 v0, vcc, v0, v4
	v_addc_co_u32_e32 v1, vcc, v1, v5, vcc
	v_mul_lo_u32 v4, s0, v1
	v_mul_hi_u32 v5, s0, v0
	v_add_u32_e32 v4, v5, v4
	v_mul_lo_u32 v5, s1, v0
	v_add_u32_e32 v4, v4, v5
	v_mul_lo_u32 v6, s0, v0
	v_mul_hi_u32 v7, v1, v6
	v_mul_lo_u32 v8, v1, v6
	v_mul_lo_u32 v10, v0, v4
	v_mul_hi_u32 v6, v0, v6
	v_mul_hi_u32 v9, v0, v4
	v_add_co_u32_e32 v6, vcc, v6, v10
	v_addc_co_u32_e32 v9, vcc, 0, v9, vcc
	v_add_co_u32_e32 v6, vcc, v6, v8
	v_mul_hi_u32 v5, v1, v4
	v_addc_co_u32_e32 v6, vcc, v9, v7, vcc
	v_addc_co_u32_e32 v5, vcc, 0, v5, vcc
	v_mul_lo_u32 v4, v1, v4
	v_add_co_u32_e32 v4, vcc, v6, v4
	v_addc_co_u32_e32 v5, vcc, 0, v5, vcc
	v_add_co_u32_e32 v4, vcc, v0, v4
	v_addc_co_u32_e32 v5, vcc, v1, v5, vcc
	v_ashrrev_i32_e32 v6, 31, v3
	v_add_co_u32_e32 v0, vcc, v2, v6
	v_addc_co_u32_e32 v1, vcc, v3, v6, vcc
	v_xor_b32_e32 v8, v0, v6
	v_xor_b32_e32 v7, v1, v6
	v_mad_u64_u32 v[0:1], s[0:1], v8, v5, 0
	v_mul_hi_u32 v9, v8, v4
	v_add_co_u32_e32 v9, vcc, v9, v0
	v_addc_co_u32_e32 v10, vcc, 0, v1, vcc
	v_mad_u64_u32 v[0:1], s[0:1], v7, v5, 0
	v_mad_u64_u32 v[4:5], s[0:1], v7, v4, 0
	v_add_co_u32_e32 v4, vcc, v9, v4
	v_addc_co_u32_e32 v4, vcc, v10, v5, vcc
	v_addc_co_u32_e32 v1, vcc, 0, v1, vcc
	v_add_co_u32_e32 v4, vcc, v4, v0
	v_addc_co_u32_e32 v5, vcc, 0, v1, vcc
	v_mul_lo_u32 v9, s11, v4
	v_mul_lo_u32 v10, s10, v5
	v_mad_u64_u32 v[0:1], s[0:1], s10, v4, 0
	v_add3_u32 v1, v1, v10, v9
	v_sub_u32_e32 v9, v7, v1
	v_mov_b32_e32 v10, s11
	v_sub_co_u32_e32 v0, vcc, v8, v0
	v_subb_co_u32_e64 v8, s[0:1], v9, v10, vcc
	v_subrev_co_u32_e64 v9, s[0:1], s10, v0
	v_subbrev_co_u32_e64 v8, s[0:1], 0, v8, s[0:1]
	v_cmp_le_u32_e64 s[0:1], s11, v8
	v_cndmask_b32_e64 v10, 0, -1, s[0:1]
	v_cmp_le_u32_e64 s[0:1], s10, v9
	v_cndmask_b32_e64 v9, 0, -1, s[0:1]
	v_cmp_eq_u32_e64 s[0:1], s11, v8
	v_cndmask_b32_e64 v8, v10, v9, s[0:1]
	v_add_co_u32_e64 v9, s[0:1], 2, v4
	v_subb_co_u32_e32 v1, vcc, v7, v1, vcc
	v_addc_co_u32_e64 v10, s[0:1], 0, v5, s[0:1]
	v_cmp_le_u32_e32 vcc, s11, v1
	v_add_co_u32_e64 v11, s[0:1], 1, v4
	v_cndmask_b32_e64 v7, 0, -1, vcc
	v_cmp_le_u32_e32 vcc, s10, v0
	v_addc_co_u32_e64 v12, s[0:1], 0, v5, s[0:1]
	v_cndmask_b32_e64 v0, 0, -1, vcc
	v_cmp_eq_u32_e32 vcc, s11, v1
	v_cmp_ne_u32_e64 s[0:1], 0, v8
	v_cndmask_b32_e32 v0, v7, v0, vcc
	v_cndmask_b32_e64 v8, v12, v10, s[0:1]
	v_cmp_ne_u32_e32 vcc, 0, v0
	v_cndmask_b32_e64 v1, v11, v9, s[0:1]
	v_cndmask_b32_e32 v0, v5, v8, vcc
	v_cndmask_b32_e32 v1, v4, v1, vcc
	v_xor_b32_e32 v4, s8, v6
	v_xor_b32_e32 v5, v0, v4
	;; [unrolled: 1-line block ×3, first 2 shown]
	v_sub_co_u32_e32 v0, vcc, v0, v4
	v_subb_co_u32_e32 v1, vcc, v5, v4, vcc
.LBB101_2:
	s_or_saveexec_b64 s[0:1], s[6:7]
	s_load_dwordx2 s[6:7], s[24:25], 0x0
	s_xor_b64 exec, exec, s[0:1]
	s_cbranch_execz .LBB101_4
; %bb.3:
	v_cvt_f32_u32_e32 v0, s2
	s_sub_i32 s8, 0, s2
	v_rcp_iflag_f32_e32 v0, v0
	v_mul_f32_e32 v0, 0x4f7ffffe, v0
	v_cvt_u32_f32_e32 v0, v0
	v_mul_lo_u32 v1, s8, v0
	v_mul_hi_u32 v1, v0, v1
	v_add_u32_e32 v0, v0, v1
	v_mul_hi_u32 v0, v2, v0
	v_mul_lo_u32 v1, v0, s2
	v_sub_u32_e32 v1, v2, v1
	v_add_u32_e32 v4, 1, v0
	v_subrev_u32_e32 v5, s2, v1
	v_cmp_le_u32_e32 vcc, s2, v1
	v_cndmask_b32_e32 v1, v1, v5, vcc
	v_cndmask_b32_e32 v0, v0, v4, vcc
	v_add_u32_e32 v4, 1, v0
	v_cmp_le_u32_e32 vcc, s2, v1
	v_cndmask_b32_e32 v0, v0, v4, vcc
	v_mov_b32_e32 v1, 0
.LBB101_4:
	s_or_b64 exec, exec, s[0:1]
	s_load_dwordx4 s[28:31], s[4:5], 0x20
	v_mul_lo_u32 v6, v1, s2
	v_mul_lo_u32 v7, v0, s3
	v_mad_u64_u32 v[4:5], s[0:1], v0, s2, 0
	v_add3_u32 v5, v5, v7, v6
	v_sub_co_u32_e32 v4, vcc, v2, v4
	v_subb_co_u32_e32 v5, vcc, v3, v5, vcc
	s_waitcnt lgkmcnt(0)
	v_cmp_gt_i64_e32 vcc, s[30:31], v[4:5]
	v_cmp_gt_i64_e64 s[0:1], s[6:7], v[0:1]
	s_and_b64 s[0:1], vcc, s[0:1]
	s_and_saveexec_b64 s[2:3], s[0:1]
	s_cbranch_execz .LBB101_18
; %bb.5:
	s_load_dwordx8 s[8:15], s[4:5], 0x38
	v_lshlrev_b64 v[2:3], 3, v[0:1]
	s_load_dwordx8 s[16:23], s[4:5], 0x0
	s_add_u32 s0, s6, -1
	s_addc_u32 s1, s7, -1
	s_waitcnt lgkmcnt(0)
	v_mov_b32_e32 v6, s15
	v_add_co_u32_e32 v8, vcc, s14, v2
	v_addc_co_u32_e32 v9, vcc, v6, v3, vcc
	global_load_dwordx2 v[2:3], v[8:9], off
	v_cmp_ne_u64_e32 vcc, s[0:1], v[0:1]
	v_pk_mov_b32 v[6:7], s[28:29], s[28:29] op_sel:[0,1]
	s_and_saveexec_b64 s[0:1], vcc
	s_cbranch_execz .LBB101_7
; %bb.6:
	global_load_dwordx2 v[6:7], v[8:9], off offset:8
.LBB101_7:
	s_or_b64 exec, exec, s[0:1]
	s_waitcnt vmcnt(0)
	v_cmp_lt_i32_e32 vcc, v2, v6
	v_pk_mov_b32 v[8:9], 0, 0
	v_lshlrev_b64 v[4:5], 3, v[4:5]
	s_and_saveexec_b64 s[6:7], vcc
	s_cbranch_execz .LBB101_17
; %bb.8:
	v_mov_b32_e32 v3, s19
	v_add_co_u32_e32 v7, vcc, s18, v4
	s_load_dword s14, s[4:5], 0x30
	v_addc_co_u32_e32 v22, vcc, v3, v5, vcc
	v_ashrrev_i32_e32 v3, 31, v2
	s_cmp_lg_u64 s[22:23], 0
	v_lshlrev_b64 v[8:9], 3, v[2:3]
	s_cselect_b64 s[0:1], -1, 0
	s_cmp_lg_u64 s[10:11], 0
	v_mov_b32_e32 v3, s17
	v_add_co_u32_e32 v10, vcc, s16, v8
	s_cselect_b64 s[2:3], -1, 0
	v_addc_co_u32_e32 v11, vcc, v3, v9, vcc
	s_waitcnt lgkmcnt(0)
	s_cmp_lg_u32 s14, 0
	v_mov_b32_e32 v3, s23
	v_add_co_u32_e32 v12, vcc, s22, v8
	v_cndmask_b32_e64 v15, 0, 1, s[0:1]
	v_cndmask_b32_e64 v16, 0, 1, s[2:3]
	s_mov_b64 s[4:5], 0
	s_mov_b32 s18, s30
	s_cselect_b64 s[14:15], -1, 0
	v_addc_co_u32_e32 v13, vcc, v3, v9, vcc
	v_pk_mov_b32 v[8:9], 0, 0
	v_mov_b32_e32 v3, s21
	v_mov_b32_e32 v14, 0
	v_cmp_ne_u32_e64 s[0:1], 1, v15
	v_cmp_ne_u32_e64 s[2:3], 1, v16
	s_branch .LBB101_10
.LBB101_9:                              ;   in Loop: Header=BB101_10 Depth=1
	v_add_co_u32_e32 v10, vcc, 8, v10
	v_add_u32_e32 v2, 1, v2
	v_addc_co_u32_e32 v11, vcc, 0, v11, vcc
	v_cmp_ge_i32_e32 vcc, v2, v6
	s_or_b64 s[4:5], vcc, s[4:5]
	v_add_co_u32_e32 v12, vcc, 8, v12
	s_waitcnt vmcnt(0)
	v_fmac_f64_e32 v[8:9], v[16:17], v[20:21]
	v_addc_co_u32_e32 v13, vcc, 0, v13, vcc
	s_andn2_b64 exec, exec, s[4:5]
	s_cbranch_execz .LBB101_16
.LBB101_10:                             ; =>This Inner Loop Header: Depth=1
	global_load_dword v20, v[10:11], off
	s_waitcnt vmcnt(0)
	v_ashrrev_i32_e32 v21, 31, v20
	v_lshlrev_b64 v[16:17], 3, v[20:21]
	v_add_co_u32_e32 v16, vcc, s20, v16
	v_addc_co_u32_e32 v17, vcc, v3, v17, vcc
	global_load_dwordx2 v[18:19], v[16:17], off
	s_and_b64 vcc, exec, s[0:1]
	s_cbranch_vccnz .LBB101_15
; %bb.11:                               ;   in Loop: Header=BB101_10 Depth=1
	global_load_dwordx2 v[16:17], v[12:13], off
	s_waitcnt vmcnt(0)
	v_cvt_f64_i32_e32 v[24:25], v17
	v_cvt_f64_u32_e32 v[16:17], v16
	v_ldexp_f64 v[24:25], v[24:25], 32
	v_add_f64 v[16:17], v[24:25], v[16:17]
	v_div_scale_f64 v[24:25], s[16:17], v[16:17], v[16:17], 1.0
	v_rcp_f64_e32 v[26:27], v[24:25]
	v_div_scale_f64 v[28:29], vcc, 1.0, v[16:17], 1.0
	v_fma_f64 v[30:31], -v[24:25], v[26:27], 1.0
	v_fmac_f64_e32 v[26:27], v[26:27], v[30:31]
	v_fma_f64 v[30:31], -v[24:25], v[26:27], 1.0
	v_fmac_f64_e32 v[26:27], v[26:27], v[30:31]
	v_mul_f64 v[30:31], v[28:29], v[26:27]
	v_fma_f64 v[24:25], -v[24:25], v[30:31], v[28:29]
	v_div_fmas_f64 v[24:25], v[24:25], v[26:27], v[30:31]
	v_div_fixup_f64 v[16:17], v[24:25], v[16:17], 1.0
	s_and_b64 vcc, exec, s[2:3]
	s_cbranch_vccnz .LBB101_13
.LBB101_12:                             ;   in Loop: Header=BB101_10 Depth=1
	v_mul_lo_u32 v15, v21, s12
	v_mul_lo_u32 v23, v20, s13
	v_mad_u64_u32 v[20:21], s[16:17], v20, s12, 0
	v_add3_u32 v21, v21, v23, v15
	v_lshlrev_b64 v[20:21], 3, v[20:21]
	v_mov_b32_e32 v15, s11
	v_add_co_u32_e32 v20, vcc, s10, v20
	v_addc_co_u32_e32 v21, vcc, v15, v21, vcc
	global_load_dwordx2 v[20:21], v[20:21], off
	s_waitcnt vmcnt(0)
	v_mul_f64 v[16:17], v[16:17], v[20:21]
.LBB101_13:                             ;   in Loop: Header=BB101_10 Depth=1
	s_waitcnt vmcnt(0)
	v_mul_lo_u32 v15, s18, v18
	v_mul_lo_u32 v19, 0, v19
	v_mad_u64_u32 v[20:21], s[16:17], 0, v18, 0
	v_add3_u32 v21, v21, v19, v15
	v_ashrrev_i64 v[20:21], 29, v[20:21]
	v_add_co_u32_e32 v20, vcc, v7, v20
	v_addc_co_u32_e32 v21, vcc, v22, v21, vcc
	global_load_dwordx2 v[20:21], v[20:21], off
	s_andn2_b64 vcc, exec, s[14:15]
	s_cbranch_vccnz .LBB101_9
; %bb.14:                               ;   in Loop: Header=BB101_10 Depth=1
	v_mov_b32_e32 v15, v18
	v_ashrrev_i64 v[18:19], 29, v[14:15]
	v_mov_b32_e32 v15, s9
	v_add_co_u32_e32 v18, vcc, s8, v18
	v_addc_co_u32_e32 v19, vcc, v15, v19, vcc
	global_load_dwordx2 v[18:19], v[18:19], off
	s_waitcnt vmcnt(0)
	v_cvt_f64_i32_e32 v[24:25], v19
	v_cvt_f64_u32_e32 v[18:19], v18
	v_ldexp_f64 v[24:25], v[24:25], 32
	v_add_f64 v[18:19], v[24:25], v[18:19]
	v_div_scale_f64 v[24:25], s[16:17], v[18:19], v[18:19], v[20:21]
	v_rcp_f64_e32 v[26:27], v[24:25]
	v_div_scale_f64 v[28:29], vcc, v[20:21], v[18:19], v[20:21]
	v_fma_f64 v[30:31], -v[24:25], v[26:27], 1.0
	v_fmac_f64_e32 v[26:27], v[26:27], v[30:31]
	v_fma_f64 v[30:31], -v[24:25], v[26:27], 1.0
	v_fmac_f64_e32 v[26:27], v[26:27], v[30:31]
	v_mul_f64 v[30:31], v[28:29], v[26:27]
	v_fma_f64 v[24:25], -v[24:25], v[30:31], v[28:29]
	v_div_fmas_f64 v[24:25], v[24:25], v[26:27], v[30:31]
	v_div_fixup_f64 v[20:21], v[24:25], v[18:19], v[20:21]
	s_branch .LBB101_9
.LBB101_15:                             ;   in Loop: Header=BB101_10 Depth=1
	v_mov_b32_e32 v16, 0
	v_mov_b32_e32 v17, 0x3ff00000
	s_and_b64 vcc, exec, s[2:3]
	s_cbranch_vccz .LBB101_12
	s_branch .LBB101_13
.LBB101_16:
	s_or_b64 exec, exec, s[4:5]
.LBB101_17:
	s_or_b64 exec, exec, s[6:7]
	v_mul_lo_u32 v2, v1, s30
	v_mul_lo_u32 v3, v0, s31
	v_mad_u64_u32 v[0:1], s[0:1], v0, s30, 0
	v_add3_u32 v1, v1, v3, v2
	v_lshlrev_b64 v[0:1], 3, v[0:1]
	v_mov_b32_e32 v2, s27
	v_add_co_u32_e32 v0, vcc, s26, v0
	v_addc_co_u32_e32 v1, vcc, v2, v1, vcc
	v_add_co_u32_e32 v0, vcc, v0, v4
	v_addc_co_u32_e32 v1, vcc, v1, v5, vcc
	global_store_dwordx2 v[0:1], v[8:9], off
.LBB101_18:
	s_endpgm
	.section	.rodata,"a",@progbits
	.p2align	6, 0x0
	.amdhsa_kernel _ZN2at6native12_GLOBAL__N_124compute_grad_weight_bagsIdlEEvPKT0_PKT_S5_S5_lliS5_S8_lS5_PKlPNS_14AccumulateTypeIS6_Lb1EE4typeEl
		.amdhsa_group_segment_fixed_size 0
		.amdhsa_private_segment_fixed_size 0
		.amdhsa_kernarg_size 368
		.amdhsa_user_sgpr_count 6
		.amdhsa_user_sgpr_private_segment_buffer 1
		.amdhsa_user_sgpr_dispatch_ptr 0
		.amdhsa_user_sgpr_queue_ptr 0
		.amdhsa_user_sgpr_kernarg_segment_ptr 1
		.amdhsa_user_sgpr_dispatch_id 0
		.amdhsa_user_sgpr_flat_scratch_init 0
		.amdhsa_user_sgpr_kernarg_preload_length 0
		.amdhsa_user_sgpr_kernarg_preload_offset 0
		.amdhsa_user_sgpr_private_segment_size 0
		.amdhsa_uses_dynamic_stack 0
		.amdhsa_system_sgpr_private_segment_wavefront_offset 0
		.amdhsa_system_sgpr_workgroup_id_x 1
		.amdhsa_system_sgpr_workgroup_id_y 0
		.amdhsa_system_sgpr_workgroup_id_z 0
		.amdhsa_system_sgpr_workgroup_info 0
		.amdhsa_system_vgpr_workitem_id 0
		.amdhsa_next_free_vgpr 32
		.amdhsa_next_free_sgpr 32
		.amdhsa_accum_offset 32
		.amdhsa_reserve_vcc 1
		.amdhsa_reserve_flat_scratch 0
		.amdhsa_float_round_mode_32 0
		.amdhsa_float_round_mode_16_64 0
		.amdhsa_float_denorm_mode_32 3
		.amdhsa_float_denorm_mode_16_64 3
		.amdhsa_dx10_clamp 1
		.amdhsa_ieee_mode 1
		.amdhsa_fp16_overflow 0
		.amdhsa_tg_split 0
		.amdhsa_exception_fp_ieee_invalid_op 0
		.amdhsa_exception_fp_denorm_src 0
		.amdhsa_exception_fp_ieee_div_zero 0
		.amdhsa_exception_fp_ieee_overflow 0
		.amdhsa_exception_fp_ieee_underflow 0
		.amdhsa_exception_fp_ieee_inexact 0
		.amdhsa_exception_int_div_zero 0
	.end_amdhsa_kernel
	.section	.text._ZN2at6native12_GLOBAL__N_124compute_grad_weight_bagsIdlEEvPKT0_PKT_S5_S5_lliS5_S8_lS5_PKlPNS_14AccumulateTypeIS6_Lb1EE4typeEl,"axG",@progbits,_ZN2at6native12_GLOBAL__N_124compute_grad_weight_bagsIdlEEvPKT0_PKT_S5_S5_lliS5_S8_lS5_PKlPNS_14AccumulateTypeIS6_Lb1EE4typeEl,comdat
.Lfunc_end101:
	.size	_ZN2at6native12_GLOBAL__N_124compute_grad_weight_bagsIdlEEvPKT0_PKT_S5_S5_lliS5_S8_lS5_PKlPNS_14AccumulateTypeIS6_Lb1EE4typeEl, .Lfunc_end101-_ZN2at6native12_GLOBAL__N_124compute_grad_weight_bagsIdlEEvPKT0_PKT_S5_S5_lliS5_S8_lS5_PKlPNS_14AccumulateTypeIS6_Lb1EE4typeEl
                                        ; -- End function
	.section	.AMDGPU.csdata,"",@progbits
; Kernel info:
; codeLenInByte = 1812
; NumSgprs: 36
; NumVgprs: 32
; NumAgprs: 0
; TotalNumVgprs: 32
; ScratchSize: 0
; MemoryBound: 0
; FloatMode: 240
; IeeeMode: 1
; LDSByteSize: 0 bytes/workgroup (compile time only)
; SGPRBlocks: 4
; VGPRBlocks: 3
; NumSGPRsForWavesPerEU: 36
; NumVGPRsForWavesPerEU: 32
; AccumOffset: 32
; Occupancy: 8
; WaveLimiterHint : 1
; COMPUTE_PGM_RSRC2:SCRATCH_EN: 0
; COMPUTE_PGM_RSRC2:USER_SGPR: 6
; COMPUTE_PGM_RSRC2:TRAP_HANDLER: 0
; COMPUTE_PGM_RSRC2:TGID_X_EN: 1
; COMPUTE_PGM_RSRC2:TGID_Y_EN: 0
; COMPUTE_PGM_RSRC2:TGID_Z_EN: 0
; COMPUTE_PGM_RSRC2:TIDIG_COMP_CNT: 0
; COMPUTE_PGM_RSRC3_GFX90A:ACCUM_OFFSET: 7
; COMPUTE_PGM_RSRC3_GFX90A:TG_SPLIT: 0
	.section	.text._ZN2at6native12_GLOBAL__N_119compute_grad_weightIdlEEvPKT0_PKT_S5_llS5_PKlPNS_14AccumulateTypeIS6_Lb1EE4typeEl,"axG",@progbits,_ZN2at6native12_GLOBAL__N_119compute_grad_weightIdlEEvPKT0_PKT_S5_llS5_PKlPNS_14AccumulateTypeIS6_Lb1EE4typeEl,comdat
	.globl	_ZN2at6native12_GLOBAL__N_119compute_grad_weightIdlEEvPKT0_PKT_S5_llS5_PKlPNS_14AccumulateTypeIS6_Lb1EE4typeEl ; -- Begin function _ZN2at6native12_GLOBAL__N_119compute_grad_weightIdlEEvPKT0_PKT_S5_llS5_PKlPNS_14AccumulateTypeIS6_Lb1EE4typeEl
	.p2align	8
	.type	_ZN2at6native12_GLOBAL__N_119compute_grad_weightIdlEEvPKT0_PKT_S5_llS5_PKlPNS_14AccumulateTypeIS6_Lb1EE4typeEl,@function
_ZN2at6native12_GLOBAL__N_119compute_grad_weightIdlEEvPKT0_PKT_S5_llS5_PKlPNS_14AccumulateTypeIS6_Lb1EE4typeEl: ; @_ZN2at6native12_GLOBAL__N_119compute_grad_weightIdlEEvPKT0_PKT_S5_llS5_PKlPNS_14AccumulateTypeIS6_Lb1EE4typeEl
; %bb.0:
	s_load_dword s0, s[4:5], 0x54
	s_load_dwordx2 s[2:3], s[4:5], 0x40
	s_load_dwordx16 s[8:23], s[4:5], 0x0
	v_mov_b32_e32 v1, 0
	v_mov_b32_e32 v2, s6
	s_waitcnt lgkmcnt(0)
	s_and_b32 s0, s0, 0xffff
	v_mad_u64_u32 v[2:3], s[0:1], s0, v2, v[0:1]
	v_or_b32_e32 v5, s3, v3
	v_mov_b32_e32 v4, v1
	v_cmp_ne_u64_e32 vcc, 0, v[4:5]
                                        ; implicit-def: $vgpr0_vgpr1
	s_and_saveexec_b64 s[0:1], vcc
	s_xor_b64 s[4:5], exec, s[0:1]
	s_cbranch_execz .LBB102_2
; %bb.1:
	s_ashr_i32 s6, s3, 31
	s_add_u32 s0, s2, s6
	s_mov_b32 s7, s6
	s_addc_u32 s1, s3, s6
	s_xor_b64 s[24:25], s[0:1], s[6:7]
	v_cvt_f32_u32_e32 v0, s24
	v_cvt_f32_u32_e32 v1, s25
	s_sub_u32 s0, 0, s24
	s_subb_u32 s1, 0, s25
	v_madmk_f32 v0, v1, 0x4f800000, v0
	v_rcp_f32_e32 v0, v0
	v_mul_f32_e32 v0, 0x5f7ffffc, v0
	v_mul_f32_e32 v1, 0x2f800000, v0
	v_trunc_f32_e32 v1, v1
	v_madmk_f32 v0, v1, 0xcf800000, v0
	v_cvt_u32_f32_e32 v1, v1
	v_cvt_u32_f32_e32 v0, v0
	v_mul_lo_u32 v4, s0, v1
	v_mul_hi_u32 v6, s0, v0
	v_mul_lo_u32 v5, s1, v0
	v_add_u32_e32 v4, v6, v4
	v_mul_lo_u32 v7, s0, v0
	v_add_u32_e32 v4, v4, v5
	v_mul_lo_u32 v6, v0, v4
	v_mul_hi_u32 v8, v0, v7
	v_mul_hi_u32 v5, v0, v4
	v_add_co_u32_e32 v6, vcc, v8, v6
	v_addc_co_u32_e32 v5, vcc, 0, v5, vcc
	v_mul_hi_u32 v9, v1, v7
	v_mul_lo_u32 v7, v1, v7
	v_add_co_u32_e32 v6, vcc, v6, v7
	v_mul_hi_u32 v8, v1, v4
	v_addc_co_u32_e32 v5, vcc, v5, v9, vcc
	v_addc_co_u32_e32 v6, vcc, 0, v8, vcc
	v_mul_lo_u32 v4, v1, v4
	v_add_co_u32_e32 v4, vcc, v5, v4
	v_addc_co_u32_e32 v5, vcc, 0, v6, vcc
	v_add_co_u32_e32 v0, vcc, v0, v4
	v_addc_co_u32_e32 v1, vcc, v1, v5, vcc
	v_mul_lo_u32 v4, s0, v1
	v_mul_hi_u32 v5, s0, v0
	v_add_u32_e32 v4, v5, v4
	v_mul_lo_u32 v5, s1, v0
	v_add_u32_e32 v4, v4, v5
	v_mul_lo_u32 v6, s0, v0
	v_mul_hi_u32 v7, v1, v6
	v_mul_lo_u32 v8, v1, v6
	v_mul_lo_u32 v10, v0, v4
	v_mul_hi_u32 v6, v0, v6
	v_mul_hi_u32 v9, v0, v4
	v_add_co_u32_e32 v6, vcc, v6, v10
	v_addc_co_u32_e32 v9, vcc, 0, v9, vcc
	v_add_co_u32_e32 v6, vcc, v6, v8
	v_mul_hi_u32 v5, v1, v4
	v_addc_co_u32_e32 v6, vcc, v9, v7, vcc
	v_addc_co_u32_e32 v5, vcc, 0, v5, vcc
	v_mul_lo_u32 v4, v1, v4
	v_add_co_u32_e32 v4, vcc, v6, v4
	v_addc_co_u32_e32 v5, vcc, 0, v5, vcc
	v_add_co_u32_e32 v4, vcc, v0, v4
	v_addc_co_u32_e32 v5, vcc, v1, v5, vcc
	v_ashrrev_i32_e32 v6, 31, v3
	v_add_co_u32_e32 v0, vcc, v2, v6
	v_addc_co_u32_e32 v1, vcc, v3, v6, vcc
	v_xor_b32_e32 v8, v0, v6
	v_xor_b32_e32 v7, v1, v6
	v_mad_u64_u32 v[0:1], s[0:1], v8, v5, 0
	v_mul_hi_u32 v9, v8, v4
	v_add_co_u32_e32 v9, vcc, v9, v0
	v_addc_co_u32_e32 v10, vcc, 0, v1, vcc
	v_mad_u64_u32 v[0:1], s[0:1], v7, v5, 0
	v_mad_u64_u32 v[4:5], s[0:1], v7, v4, 0
	v_add_co_u32_e32 v4, vcc, v9, v4
	v_addc_co_u32_e32 v4, vcc, v10, v5, vcc
	v_addc_co_u32_e32 v1, vcc, 0, v1, vcc
	v_add_co_u32_e32 v4, vcc, v4, v0
	v_addc_co_u32_e32 v5, vcc, 0, v1, vcc
	v_mul_lo_u32 v9, s25, v4
	v_mul_lo_u32 v10, s24, v5
	v_mad_u64_u32 v[0:1], s[0:1], s24, v4, 0
	v_add3_u32 v1, v1, v10, v9
	v_sub_u32_e32 v9, v7, v1
	v_mov_b32_e32 v10, s25
	v_sub_co_u32_e32 v0, vcc, v8, v0
	v_subb_co_u32_e64 v8, s[0:1], v9, v10, vcc
	v_subrev_co_u32_e64 v9, s[0:1], s24, v0
	v_subbrev_co_u32_e64 v8, s[0:1], 0, v8, s[0:1]
	v_cmp_le_u32_e64 s[0:1], s25, v8
	v_cndmask_b32_e64 v10, 0, -1, s[0:1]
	v_cmp_le_u32_e64 s[0:1], s24, v9
	v_cndmask_b32_e64 v9, 0, -1, s[0:1]
	v_cmp_eq_u32_e64 s[0:1], s25, v8
	v_cndmask_b32_e64 v8, v10, v9, s[0:1]
	v_add_co_u32_e64 v9, s[0:1], 2, v4
	v_subb_co_u32_e32 v1, vcc, v7, v1, vcc
	v_addc_co_u32_e64 v10, s[0:1], 0, v5, s[0:1]
	v_cmp_le_u32_e32 vcc, s25, v1
	v_add_co_u32_e64 v11, s[0:1], 1, v4
	v_cndmask_b32_e64 v7, 0, -1, vcc
	v_cmp_le_u32_e32 vcc, s24, v0
	v_addc_co_u32_e64 v12, s[0:1], 0, v5, s[0:1]
	v_cndmask_b32_e64 v0, 0, -1, vcc
	v_cmp_eq_u32_e32 vcc, s25, v1
	v_cmp_ne_u32_e64 s[0:1], 0, v8
	v_cndmask_b32_e32 v0, v7, v0, vcc
	v_cndmask_b32_e64 v8, v12, v10, s[0:1]
	v_cmp_ne_u32_e32 vcc, 0, v0
	v_cndmask_b32_e64 v1, v11, v9, s[0:1]
	v_cndmask_b32_e32 v0, v5, v8, vcc
	v_cndmask_b32_e32 v1, v4, v1, vcc
	v_xor_b32_e32 v4, s6, v6
	v_xor_b32_e32 v5, v0, v4
	;; [unrolled: 1-line block ×3, first 2 shown]
	v_sub_co_u32_e32 v0, vcc, v0, v4
	v_subb_co_u32_e32 v1, vcc, v5, v4, vcc
.LBB102_2:
	s_or_saveexec_b64 s[0:1], s[4:5]
	s_load_dwordx2 s[4:5], s[20:21], 0x0
	s_xor_b64 exec, exec, s[0:1]
	s_cbranch_execz .LBB102_4
; %bb.3:
	v_cvt_f32_u32_e32 v0, s2
	s_sub_i32 s6, 0, s2
	v_rcp_iflag_f32_e32 v0, v0
	v_mul_f32_e32 v0, 0x4f7ffffe, v0
	v_cvt_u32_f32_e32 v0, v0
	v_mul_lo_u32 v1, s6, v0
	v_mul_hi_u32 v1, v0, v1
	v_add_u32_e32 v0, v0, v1
	v_mul_hi_u32 v0, v2, v0
	v_mul_lo_u32 v1, v0, s2
	v_sub_u32_e32 v1, v2, v1
	v_add_u32_e32 v4, 1, v0
	v_subrev_u32_e32 v5, s2, v1
	v_cmp_le_u32_e32 vcc, s2, v1
	v_cndmask_b32_e32 v1, v1, v5, vcc
	v_cndmask_b32_e32 v0, v0, v4, vcc
	v_add_u32_e32 v4, 1, v0
	v_cmp_le_u32_e32 vcc, s2, v1
	v_cndmask_b32_e32 v0, v0, v4, vcc
	v_mov_b32_e32 v1, 0
.LBB102_4:
	s_or_b64 exec, exec, s[0:1]
	v_mul_lo_u32 v6, v1, s2
	v_mul_lo_u32 v7, v0, s3
	v_mad_u64_u32 v[4:5], s[0:1], v0, s2, 0
	v_add3_u32 v5, v5, v7, v6
	v_sub_co_u32_e32 v4, vcc, v2, v4
	v_subb_co_u32_e32 v5, vcc, v3, v5, vcc
	v_cmp_gt_i64_e32 vcc, s[16:17], v[4:5]
	s_waitcnt lgkmcnt(0)
	v_cmp_gt_i64_e64 s[0:1], s[4:5], v[0:1]
	s_and_b64 s[0:1], vcc, s[0:1]
	s_and_saveexec_b64 s[2:3], s[0:1]
	s_cbranch_execz .LBB102_15
; %bb.5:
	v_lshlrev_b64 v[2:3], 3, v[0:1]
	v_mov_b32_e32 v6, s19
	v_add_co_u32_e32 v8, vcc, s18, v2
	v_addc_co_u32_e32 v9, vcc, v6, v3, vcc
	global_load_dwordx2 v[2:3], v[8:9], off
	s_add_u32 s0, s4, -1
	s_addc_u32 s1, s5, -1
	v_cmp_ne_u64_e32 vcc, s[0:1], v[0:1]
	v_pk_mov_b32 v[6:7], s[14:15], s[14:15] op_sel:[0,1]
	s_and_saveexec_b64 s[0:1], vcc
	s_cbranch_execz .LBB102_7
; %bb.6:
	global_load_dwordx2 v[6:7], v[8:9], off offset:8
.LBB102_7:
	s_or_b64 exec, exec, s[0:1]
	s_waitcnt vmcnt(0)
	v_cmp_lt_i32_e32 vcc, v2, v6
	v_pk_mov_b32 v[8:9], 0, 0
	v_lshlrev_b64 v[4:5], 3, v[4:5]
	s_and_saveexec_b64 s[2:3], vcc
	s_cbranch_execz .LBB102_14
; %bb.8:
	v_mov_b32_e32 v3, s11
	v_add_co_u32_e32 v7, vcc, s10, v4
	v_addc_co_u32_e32 v18, vcc, v3, v5, vcc
	v_ashrrev_i32_e32 v3, 31, v2
	v_lshlrev_b64 v[8:9], 3, v[2:3]
	v_mov_b32_e32 v3, s9
	v_add_co_u32_e32 v10, vcc, s8, v8
	s_cmp_lg_u64 s[12:13], 0
	v_addc_co_u32_e32 v11, vcc, v3, v9, vcc
	v_mov_b32_e32 v3, s13
	v_add_co_u32_e32 v12, vcc, s12, v8
	s_cselect_b64 s[0:1], -1, 0
	v_addc_co_u32_e32 v13, vcc, v3, v9, vcc
	v_cndmask_b32_e64 v3, 0, 1, s[0:1]
	s_mov_b64 s[4:5], 0
	v_pk_mov_b32 v[8:9], 0, 0
	v_cmp_ne_u32_e64 s[0:1], 1, v3
	s_branch .LBB102_11
.LBB102_9:                              ;   in Loop: Header=BB102_11 Depth=1
	global_load_dwordx2 v[16:17], v[12:13], off
	s_waitcnt vmcnt(0)
	v_cvt_f64_i32_e32 v[20:21], v17
	v_cvt_f64_u32_e32 v[16:17], v16
	v_ldexp_f64 v[20:21], v[20:21], 32
	v_add_f64 v[16:17], v[20:21], v[16:17]
	v_div_scale_f64 v[20:21], s[6:7], v[16:17], v[16:17], 1.0
	v_rcp_f64_e32 v[22:23], v[20:21]
	v_div_scale_f64 v[24:25], vcc, 1.0, v[16:17], 1.0
	v_fma_f64 v[26:27], -v[20:21], v[22:23], 1.0
	v_fmac_f64_e32 v[22:23], v[22:23], v[26:27]
	v_fma_f64 v[26:27], -v[20:21], v[22:23], 1.0
	v_fmac_f64_e32 v[22:23], v[22:23], v[26:27]
	v_mul_f64 v[26:27], v[24:25], v[22:23]
	v_fma_f64 v[20:21], -v[20:21], v[26:27], v[24:25]
	v_div_fmas_f64 v[20:21], v[20:21], v[22:23], v[26:27]
	v_div_fixup_f64 v[16:17], v[20:21], v[16:17], 1.0
.LBB102_10:                             ;   in Loop: Header=BB102_11 Depth=1
	s_waitcnt vmcnt(0)
	v_mul_lo_u32 v3, v15, s16
	v_mul_lo_u32 v19, v14, s17
	v_mad_u64_u32 v[14:15], s[6:7], v14, s16, 0
	v_add3_u32 v15, v15, v19, v3
	v_lshlrev_b64 v[14:15], 3, v[14:15]
	v_add_co_u32_e32 v14, vcc, v7, v14
	v_addc_co_u32_e32 v15, vcc, v18, v15, vcc
	global_load_dwordx2 v[14:15], v[14:15], off
	v_add_co_u32_e32 v10, vcc, 8, v10
	v_add_u32_e32 v2, 1, v2
	v_addc_co_u32_e32 v11, vcc, 0, v11, vcc
	v_cmp_ge_i32_e32 vcc, v2, v6
	s_or_b64 s[4:5], vcc, s[4:5]
	v_add_co_u32_e32 v12, vcc, 8, v12
	v_addc_co_u32_e32 v13, vcc, 0, v13, vcc
	s_waitcnt vmcnt(0)
	v_fmac_f64_e32 v[8:9], v[16:17], v[14:15]
	s_andn2_b64 exec, exec, s[4:5]
	s_cbranch_execz .LBB102_13
.LBB102_11:                             ; =>This Inner Loop Header: Depth=1
	global_load_dwordx2 v[14:15], v[10:11], off
	s_and_b64 vcc, exec, s[0:1]
	s_cbranch_vccz .LBB102_9
; %bb.12:                               ;   in Loop: Header=BB102_11 Depth=1
	v_mov_b32_e32 v16, 0
	v_mov_b32_e32 v17, 0x3ff00000
	s_branch .LBB102_10
.LBB102_13:
	s_or_b64 exec, exec, s[4:5]
.LBB102_14:
	s_or_b64 exec, exec, s[2:3]
	v_mul_lo_u32 v2, v1, s16
	v_mul_lo_u32 v3, v0, s17
	v_mad_u64_u32 v[0:1], s[0:1], v0, s16, 0
	v_add3_u32 v1, v1, v3, v2
	v_lshlrev_b64 v[0:1], 3, v[0:1]
	v_mov_b32_e32 v2, s23
	v_add_co_u32_e32 v0, vcc, s22, v0
	v_addc_co_u32_e32 v1, vcc, v2, v1, vcc
	v_add_co_u32_e32 v0, vcc, v0, v4
	v_addc_co_u32_e32 v1, vcc, v1, v5, vcc
	global_store_dwordx2 v[0:1], v[8:9], off
.LBB102_15:
	s_endpgm
	.section	.rodata,"a",@progbits
	.p2align	6, 0x0
	.amdhsa_kernel _ZN2at6native12_GLOBAL__N_119compute_grad_weightIdlEEvPKT0_PKT_S5_llS5_PKlPNS_14AccumulateTypeIS6_Lb1EE4typeEl
		.amdhsa_group_segment_fixed_size 0
		.amdhsa_private_segment_fixed_size 0
		.amdhsa_kernarg_size 328
		.amdhsa_user_sgpr_count 6
		.amdhsa_user_sgpr_private_segment_buffer 1
		.amdhsa_user_sgpr_dispatch_ptr 0
		.amdhsa_user_sgpr_queue_ptr 0
		.amdhsa_user_sgpr_kernarg_segment_ptr 1
		.amdhsa_user_sgpr_dispatch_id 0
		.amdhsa_user_sgpr_flat_scratch_init 0
		.amdhsa_user_sgpr_kernarg_preload_length 0
		.amdhsa_user_sgpr_kernarg_preload_offset 0
		.amdhsa_user_sgpr_private_segment_size 0
		.amdhsa_uses_dynamic_stack 0
		.amdhsa_system_sgpr_private_segment_wavefront_offset 0
		.amdhsa_system_sgpr_workgroup_id_x 1
		.amdhsa_system_sgpr_workgroup_id_y 0
		.amdhsa_system_sgpr_workgroup_id_z 0
		.amdhsa_system_sgpr_workgroup_info 0
		.amdhsa_system_vgpr_workitem_id 0
		.amdhsa_next_free_vgpr 28
		.amdhsa_next_free_sgpr 26
		.amdhsa_accum_offset 28
		.amdhsa_reserve_vcc 1
		.amdhsa_reserve_flat_scratch 0
		.amdhsa_float_round_mode_32 0
		.amdhsa_float_round_mode_16_64 0
		.amdhsa_float_denorm_mode_32 3
		.amdhsa_float_denorm_mode_16_64 3
		.amdhsa_dx10_clamp 1
		.amdhsa_ieee_mode 1
		.amdhsa_fp16_overflow 0
		.amdhsa_tg_split 0
		.amdhsa_exception_fp_ieee_invalid_op 0
		.amdhsa_exception_fp_denorm_src 0
		.amdhsa_exception_fp_ieee_div_zero 0
		.amdhsa_exception_fp_ieee_overflow 0
		.amdhsa_exception_fp_ieee_underflow 0
		.amdhsa_exception_fp_ieee_inexact 0
		.amdhsa_exception_int_div_zero 0
	.end_amdhsa_kernel
	.section	.text._ZN2at6native12_GLOBAL__N_119compute_grad_weightIdlEEvPKT0_PKT_S5_llS5_PKlPNS_14AccumulateTypeIS6_Lb1EE4typeEl,"axG",@progbits,_ZN2at6native12_GLOBAL__N_119compute_grad_weightIdlEEvPKT0_PKT_S5_llS5_PKlPNS_14AccumulateTypeIS6_Lb1EE4typeEl,comdat
.Lfunc_end102:
	.size	_ZN2at6native12_GLOBAL__N_119compute_grad_weightIdlEEvPKT0_PKT_S5_llS5_PKlPNS_14AccumulateTypeIS6_Lb1EE4typeEl, .Lfunc_end102-_ZN2at6native12_GLOBAL__N_119compute_grad_weightIdlEEvPKT0_PKT_S5_llS5_PKlPNS_14AccumulateTypeIS6_Lb1EE4typeEl
                                        ; -- End function
	.section	.AMDGPU.csdata,"",@progbits
; Kernel info:
; codeLenInByte = 1460
; NumSgprs: 30
; NumVgprs: 28
; NumAgprs: 0
; TotalNumVgprs: 28
; ScratchSize: 0
; MemoryBound: 0
; FloatMode: 240
; IeeeMode: 1
; LDSByteSize: 0 bytes/workgroup (compile time only)
; SGPRBlocks: 3
; VGPRBlocks: 3
; NumSGPRsForWavesPerEU: 30
; NumVGPRsForWavesPerEU: 28
; AccumOffset: 28
; Occupancy: 8
; WaveLimiterHint : 1
; COMPUTE_PGM_RSRC2:SCRATCH_EN: 0
; COMPUTE_PGM_RSRC2:USER_SGPR: 6
; COMPUTE_PGM_RSRC2:TRAP_HANDLER: 0
; COMPUTE_PGM_RSRC2:TGID_X_EN: 1
; COMPUTE_PGM_RSRC2:TGID_Y_EN: 0
; COMPUTE_PGM_RSRC2:TGID_Z_EN: 0
; COMPUTE_PGM_RSRC2:TIDIG_COMP_CNT: 0
; COMPUTE_PGM_RSRC3_GFX90A:ACCUM_OFFSET: 6
; COMPUTE_PGM_RSRC3_GFX90A:TG_SPLIT: 0
	.section	.text._ZN2at6native12_GLOBAL__N_115sum_and_scatterIdlEEvPKT0_PT_lS5_PKlPKNS_14AccumulateTypeIS6_Lb1EE4typeES5_S9_ll,"axG",@progbits,_ZN2at6native12_GLOBAL__N_115sum_and_scatterIdlEEvPKT0_PT_lS5_PKlPKNS_14AccumulateTypeIS6_Lb1EE4typeES5_S9_ll,comdat
	.globl	_ZN2at6native12_GLOBAL__N_115sum_and_scatterIdlEEvPKT0_PT_lS5_PKlPKNS_14AccumulateTypeIS6_Lb1EE4typeES5_S9_ll ; -- Begin function _ZN2at6native12_GLOBAL__N_115sum_and_scatterIdlEEvPKT0_PT_lS5_PKlPKNS_14AccumulateTypeIS6_Lb1EE4typeES5_S9_ll
	.p2align	8
	.type	_ZN2at6native12_GLOBAL__N_115sum_and_scatterIdlEEvPKT0_PT_lS5_PKlPKNS_14AccumulateTypeIS6_Lb1EE4typeES5_S9_ll,@function
_ZN2at6native12_GLOBAL__N_115sum_and_scatterIdlEEvPKT0_PT_lS5_PKlPKNS_14AccumulateTypeIS6_Lb1EE4typeES5_S9_ll: ; @_ZN2at6native12_GLOBAL__N_115sum_and_scatterIdlEEvPKT0_PT_lS5_PKlPKNS_14AccumulateTypeIS6_Lb1EE4typeES5_S9_ll
; %bb.0:
	s_load_dword s0, s[4:5], 0x5c
	s_load_dwordx4 s[24:27], s[4:5], 0x40
	s_load_dwordx16 s[8:23], s[4:5], 0x0
	v_mov_b32_e32 v1, 0
	v_mov_b32_e32 v2, s6
	s_waitcnt lgkmcnt(0)
	s_and_b32 s0, s0, 0xffff
	v_mad_u64_u32 v[2:3], s[0:1], s0, v2, v[0:1]
	v_or_b32_e32 v5, s27, v3
	v_mov_b32_e32 v4, v1
	v_cmp_ne_u64_e32 vcc, 0, v[4:5]
                                        ; implicit-def: $vgpr6_vgpr7
	s_and_saveexec_b64 s[0:1], vcc
	s_xor_b64 s[2:3], exec, s[0:1]
	s_cbranch_execz .LBB103_2
; %bb.1:
	s_ashr_i32 s4, s27, 31
	s_add_u32 s0, s26, s4
	s_mov_b32 s5, s4
	s_addc_u32 s1, s27, s4
	s_xor_b64 s[6:7], s[0:1], s[4:5]
	v_cvt_f32_u32_e32 v0, s6
	v_cvt_f32_u32_e32 v1, s7
	s_sub_u32 s0, 0, s6
	s_subb_u32 s1, 0, s7
	v_madmk_f32 v0, v1, 0x4f800000, v0
	v_rcp_f32_e32 v0, v0
	v_mul_f32_e32 v0, 0x5f7ffffc, v0
	v_mul_f32_e32 v1, 0x2f800000, v0
	v_trunc_f32_e32 v1, v1
	v_madmk_f32 v0, v1, 0xcf800000, v0
	v_cvt_u32_f32_e32 v1, v1
	v_cvt_u32_f32_e32 v0, v0
	v_mul_lo_u32 v4, s0, v1
	v_mul_hi_u32 v6, s0, v0
	v_mul_lo_u32 v5, s1, v0
	v_add_u32_e32 v4, v6, v4
	v_mul_lo_u32 v7, s0, v0
	v_add_u32_e32 v4, v4, v5
	v_mul_lo_u32 v6, v0, v4
	v_mul_hi_u32 v8, v0, v7
	v_mul_hi_u32 v5, v0, v4
	v_add_co_u32_e32 v6, vcc, v8, v6
	v_addc_co_u32_e32 v5, vcc, 0, v5, vcc
	v_mul_hi_u32 v9, v1, v7
	v_mul_lo_u32 v7, v1, v7
	v_add_co_u32_e32 v6, vcc, v6, v7
	v_mul_hi_u32 v8, v1, v4
	v_addc_co_u32_e32 v5, vcc, v5, v9, vcc
	v_addc_co_u32_e32 v6, vcc, 0, v8, vcc
	v_mul_lo_u32 v4, v1, v4
	v_add_co_u32_e32 v4, vcc, v5, v4
	v_addc_co_u32_e32 v5, vcc, 0, v6, vcc
	v_add_co_u32_e32 v0, vcc, v0, v4
	v_addc_co_u32_e32 v1, vcc, v1, v5, vcc
	v_mul_lo_u32 v4, s0, v1
	v_mul_hi_u32 v5, s0, v0
	v_add_u32_e32 v4, v5, v4
	v_mul_lo_u32 v5, s1, v0
	v_add_u32_e32 v4, v4, v5
	v_mul_lo_u32 v6, s0, v0
	v_mul_hi_u32 v7, v1, v6
	v_mul_lo_u32 v8, v1, v6
	v_mul_lo_u32 v10, v0, v4
	v_mul_hi_u32 v6, v0, v6
	v_mul_hi_u32 v9, v0, v4
	v_add_co_u32_e32 v6, vcc, v6, v10
	v_addc_co_u32_e32 v9, vcc, 0, v9, vcc
	v_add_co_u32_e32 v6, vcc, v6, v8
	v_mul_hi_u32 v5, v1, v4
	v_addc_co_u32_e32 v6, vcc, v9, v7, vcc
	v_addc_co_u32_e32 v5, vcc, 0, v5, vcc
	v_mul_lo_u32 v4, v1, v4
	v_add_co_u32_e32 v4, vcc, v6, v4
	v_addc_co_u32_e32 v5, vcc, 0, v5, vcc
	v_add_co_u32_e32 v4, vcc, v0, v4
	v_addc_co_u32_e32 v5, vcc, v1, v5, vcc
	v_ashrrev_i32_e32 v6, 31, v3
	v_add_co_u32_e32 v0, vcc, v2, v6
	v_addc_co_u32_e32 v1, vcc, v3, v6, vcc
	v_xor_b32_e32 v8, v0, v6
	v_xor_b32_e32 v7, v1, v6
	v_mad_u64_u32 v[0:1], s[0:1], v8, v5, 0
	v_mul_hi_u32 v9, v8, v4
	v_add_co_u32_e32 v9, vcc, v9, v0
	v_addc_co_u32_e32 v10, vcc, 0, v1, vcc
	v_mad_u64_u32 v[0:1], s[0:1], v7, v5, 0
	v_mad_u64_u32 v[4:5], s[0:1], v7, v4, 0
	v_add_co_u32_e32 v4, vcc, v9, v4
	v_addc_co_u32_e32 v4, vcc, v10, v5, vcc
	v_addc_co_u32_e32 v1, vcc, 0, v1, vcc
	v_add_co_u32_e32 v4, vcc, v4, v0
	v_addc_co_u32_e32 v5, vcc, 0, v1, vcc
	v_mul_lo_u32 v9, s7, v4
	v_mul_lo_u32 v10, s6, v5
	v_mad_u64_u32 v[0:1], s[0:1], s6, v4, 0
	v_add3_u32 v1, v1, v10, v9
	v_sub_u32_e32 v9, v7, v1
	v_mov_b32_e32 v10, s7
	v_sub_co_u32_e32 v0, vcc, v8, v0
	v_subb_co_u32_e64 v8, s[0:1], v9, v10, vcc
	v_subrev_co_u32_e64 v9, s[0:1], s6, v0
	v_subbrev_co_u32_e64 v8, s[0:1], 0, v8, s[0:1]
	v_cmp_le_u32_e64 s[0:1], s7, v8
	v_cndmask_b32_e64 v10, 0, -1, s[0:1]
	v_cmp_le_u32_e64 s[0:1], s6, v9
	v_cndmask_b32_e64 v9, 0, -1, s[0:1]
	v_cmp_eq_u32_e64 s[0:1], s7, v8
	v_cndmask_b32_e64 v8, v10, v9, s[0:1]
	v_add_co_u32_e64 v9, s[0:1], 2, v4
	v_subb_co_u32_e32 v1, vcc, v7, v1, vcc
	v_addc_co_u32_e64 v10, s[0:1], 0, v5, s[0:1]
	v_cmp_le_u32_e32 vcc, s7, v1
	v_add_co_u32_e64 v11, s[0:1], 1, v4
	v_cndmask_b32_e64 v7, 0, -1, vcc
	v_cmp_le_u32_e32 vcc, s6, v0
	v_addc_co_u32_e64 v12, s[0:1], 0, v5, s[0:1]
	v_cndmask_b32_e64 v0, 0, -1, vcc
	v_cmp_eq_u32_e32 vcc, s7, v1
	v_cmp_ne_u32_e64 s[0:1], 0, v8
	v_cndmask_b32_e32 v0, v7, v0, vcc
	v_cmp_ne_u32_e32 vcc, 0, v0
	v_cndmask_b32_e64 v1, v11, v9, s[0:1]
	v_cndmask_b32_e64 v8, v12, v10, s[0:1]
	v_cndmask_b32_e32 v1, v4, v1, vcc
	v_xor_b32_e32 v4, s4, v6
	v_cndmask_b32_e32 v0, v5, v8, vcc
	v_xor_b32_e32 v1, v1, v4
	v_xor_b32_e32 v0, v0, v4
	v_sub_co_u32_e32 v6, vcc, v1, v4
	v_subb_co_u32_e32 v7, vcc, v0, v4, vcc
.LBB103_2:
	s_or_saveexec_b64 s[0:1], s[2:3]
	s_load_dwordx2 s[2:3], s[16:17], 0x0
	s_xor_b64 exec, exec, s[0:1]
	s_cbranch_execz .LBB103_4
; %bb.3:
	v_cvt_f32_u32_e32 v0, s26
	s_sub_i32 s4, 0, s26
	v_mov_b32_e32 v7, 0
	v_rcp_iflag_f32_e32 v0, v0
	v_mul_f32_e32 v0, 0x4f7ffffe, v0
	v_cvt_u32_f32_e32 v0, v0
	v_mul_lo_u32 v1, s4, v0
	v_mul_hi_u32 v1, v0, v1
	v_add_u32_e32 v0, v0, v1
	v_mul_hi_u32 v0, v2, v0
	v_mul_lo_u32 v1, v0, s26
	v_sub_u32_e32 v1, v2, v1
	v_add_u32_e32 v4, 1, v0
	v_subrev_u32_e32 v5, s26, v1
	v_cmp_le_u32_e32 vcc, s26, v1
	v_cndmask_b32_e32 v1, v1, v5, vcc
	v_cndmask_b32_e32 v0, v0, v4, vcc
	v_add_u32_e32 v4, 1, v0
	v_cmp_le_u32_e32 vcc, s26, v1
	v_cndmask_b32_e32 v6, v0, v4, vcc
.LBB103_4:
	s_or_b64 exec, exec, s[0:1]
	v_mul_lo_u32 v0, v7, s26
	v_mul_lo_u32 v1, v6, s27
	v_mad_u64_u32 v[8:9], s[0:1], v6, s26, 0
	v_add3_u32 v9, v9, v1, v0
	v_sub_co_u32_e32 v0, vcc, v2, v8
	v_subb_co_u32_e32 v1, vcc, v3, v9, vcc
	v_cmp_gt_i64_e32 vcc, s[12:13], v[0:1]
	s_waitcnt lgkmcnt(0)
	v_cmp_gt_i64_e64 s[0:1], s[2:3], v[6:7]
	s_and_b64 s[0:1], vcc, s[0:1]
	s_and_saveexec_b64 s[4:5], s[0:1]
	s_cbranch_execz .LBB103_11
; %bb.5:
	v_lshlrev_b64 v[4:5], 3, v[6:7]
	v_mov_b32_e32 v10, s21
	v_add_co_u32_e32 v12, vcc, s20, v4
	v_addc_co_u32_e32 v13, vcc, v10, v5, vcc
	s_add_u32 s0, s2, -1
	v_add_co_u32_e32 v11, vcc, 8, v12
	global_load_dword v10, v[12:13], off
	s_addc_u32 s1, s3, -1
	v_addc_co_u32_e32 v12, vcc, 0, v13, vcc
	v_mov_b32_e32 v13, s23
	v_cmp_eq_u64_e32 vcc, s[0:1], v[6:7]
	v_mov_b32_e32 v6, s22
	v_cndmask_b32_e32 v7, v12, v13, vcc
	v_cndmask_b32_e32 v6, v11, v6, vcc
	global_load_dword v11, v[6:7], off
	v_pk_mov_b32 v[6:7], 0, 0
	s_waitcnt vmcnt(0)
	v_cmp_lt_i32_e32 vcc, v10, v11
	s_and_saveexec_b64 s[0:1], vcc
	s_cbranch_execz .LBB103_9
; %bb.6:
	v_ashrrev_i32_e32 v6, 31, v10
	v_mul_lo_u32 v12, s13, v10
	v_mul_lo_u32 v13, s12, v6
	v_mad_u64_u32 v[6:7], s[2:3], s12, v10, 0
	v_add3_u32 v7, v7, v13, v12
	v_lshlrev_b64 v[6:7], 3, v[6:7]
	v_lshlrev_b64 v[2:3], 3, v[2:3]
	v_add_co_u32_e32 v6, vcc, v6, v2
	v_addc_co_u32_e32 v7, vcc, v7, v3, vcc
	v_lshlrev_b64 v[2:3], 3, v[8:9]
	v_sub_co_u32_e32 v2, vcc, v6, v2
	v_subb_co_u32_e32 v3, vcc, v7, v3, vcc
	v_mov_b32_e32 v6, s19
	v_add_co_u32_e32 v2, vcc, s18, v2
	s_lshl_b64 s[4:5], s[12:13], 3
	v_addc_co_u32_e32 v3, vcc, v6, v3, vcc
	s_mov_b64 s[2:3], 0
	v_pk_mov_b32 v[6:7], 0, 0
	v_mov_b32_e32 v8, s5
.LBB103_7:                              ; =>This Inner Loop Header: Depth=1
	global_load_dwordx2 v[12:13], v[2:3], off
	v_add_co_u32_e32 v2, vcc, s4, v2
	v_add_u32_e32 v10, 1, v10
	v_addc_co_u32_e32 v3, vcc, v3, v8, vcc
	v_cmp_ge_i32_e32 vcc, v10, v11
	s_or_b64 s[2:3], vcc, s[2:3]
	s_waitcnt vmcnt(0)
	v_add_f64 v[6:7], v[6:7], v[12:13]
	s_andn2_b64 exec, exec, s[2:3]
	s_cbranch_execnz .LBB103_7
; %bb.8:
	s_or_b64 exec, exec, s[2:3]
.LBB103_9:
	s_or_b64 exec, exec, s[0:1]
	v_mov_b32_e32 v3, s15
	v_add_co_u32_e32 v2, vcc, s14, v4
	v_addc_co_u32_e32 v3, vcc, v3, v5, vcc
	global_load_dwordx2 v[2:3], v[2:3], off
	v_mov_b32_e32 v4, s9
	s_waitcnt vmcnt(0)
	v_lshlrev_b64 v[2:3], 3, v[2:3]
	v_add_co_u32_e32 v2, vcc, s8, v2
	v_addc_co_u32_e32 v3, vcc, v4, v3, vcc
	global_load_dwordx2 v[2:3], v[2:3], off
	s_waitcnt vmcnt(0)
	v_cmp_ne_u64_e32 vcc, s[24:25], v[2:3]
	s_and_b64 exec, exec, vcc
	s_cbranch_execz .LBB103_11
; %bb.10:
	v_mul_lo_u32 v4, v3, s12
	v_mul_lo_u32 v5, v2, s13
	v_mad_u64_u32 v[2:3], s[0:1], v2, s12, 0
	v_add3_u32 v3, v3, v5, v4
	v_lshlrev_b64 v[2:3], 3, v[2:3]
	v_mov_b32_e32 v4, s11
	v_add_co_u32_e32 v2, vcc, s10, v2
	v_addc_co_u32_e32 v3, vcc, v4, v3, vcc
	v_lshlrev_b64 v[0:1], 3, v[0:1]
	v_add_co_u32_e32 v0, vcc, v2, v0
	v_addc_co_u32_e32 v1, vcc, v3, v1, vcc
	global_store_dwordx2 v[0:1], v[6:7], off
.LBB103_11:
	s_endpgm
	.section	.rodata,"a",@progbits
	.p2align	6, 0x0
	.amdhsa_kernel _ZN2at6native12_GLOBAL__N_115sum_and_scatterIdlEEvPKT0_PT_lS5_PKlPKNS_14AccumulateTypeIS6_Lb1EE4typeES5_S9_ll
		.amdhsa_group_segment_fixed_size 0
		.amdhsa_private_segment_fixed_size 0
		.amdhsa_kernarg_size 336
		.amdhsa_user_sgpr_count 6
		.amdhsa_user_sgpr_private_segment_buffer 1
		.amdhsa_user_sgpr_dispatch_ptr 0
		.amdhsa_user_sgpr_queue_ptr 0
		.amdhsa_user_sgpr_kernarg_segment_ptr 1
		.amdhsa_user_sgpr_dispatch_id 0
		.amdhsa_user_sgpr_flat_scratch_init 0
		.amdhsa_user_sgpr_kernarg_preload_length 0
		.amdhsa_user_sgpr_kernarg_preload_offset 0
		.amdhsa_user_sgpr_private_segment_size 0
		.amdhsa_uses_dynamic_stack 0
		.amdhsa_system_sgpr_private_segment_wavefront_offset 0
		.amdhsa_system_sgpr_workgroup_id_x 1
		.amdhsa_system_sgpr_workgroup_id_y 0
		.amdhsa_system_sgpr_workgroup_id_z 0
		.amdhsa_system_sgpr_workgroup_info 0
		.amdhsa_system_vgpr_workitem_id 0
		.amdhsa_next_free_vgpr 14
		.amdhsa_next_free_sgpr 28
		.amdhsa_accum_offset 16
		.amdhsa_reserve_vcc 1
		.amdhsa_reserve_flat_scratch 0
		.amdhsa_float_round_mode_32 0
		.amdhsa_float_round_mode_16_64 0
		.amdhsa_float_denorm_mode_32 3
		.amdhsa_float_denorm_mode_16_64 3
		.amdhsa_dx10_clamp 1
		.amdhsa_ieee_mode 1
		.amdhsa_fp16_overflow 0
		.amdhsa_tg_split 0
		.amdhsa_exception_fp_ieee_invalid_op 0
		.amdhsa_exception_fp_denorm_src 0
		.amdhsa_exception_fp_ieee_div_zero 0
		.amdhsa_exception_fp_ieee_overflow 0
		.amdhsa_exception_fp_ieee_underflow 0
		.amdhsa_exception_fp_ieee_inexact 0
		.amdhsa_exception_int_div_zero 0
	.end_amdhsa_kernel
	.section	.text._ZN2at6native12_GLOBAL__N_115sum_and_scatterIdlEEvPKT0_PT_lS5_PKlPKNS_14AccumulateTypeIS6_Lb1EE4typeES5_S9_ll,"axG",@progbits,_ZN2at6native12_GLOBAL__N_115sum_and_scatterIdlEEvPKT0_PT_lS5_PKlPKNS_14AccumulateTypeIS6_Lb1EE4typeES5_S9_ll,comdat
.Lfunc_end103:
	.size	_ZN2at6native12_GLOBAL__N_115sum_and_scatterIdlEEvPKT0_PT_lS5_PKlPKNS_14AccumulateTypeIS6_Lb1EE4typeES5_S9_ll, .Lfunc_end103-_ZN2at6native12_GLOBAL__N_115sum_and_scatterIdlEEvPKT0_PT_lS5_PKlPKNS_14AccumulateTypeIS6_Lb1EE4typeES5_S9_ll
                                        ; -- End function
	.section	.AMDGPU.csdata,"",@progbits
; Kernel info:
; codeLenInByte = 1352
; NumSgprs: 32
; NumVgprs: 14
; NumAgprs: 0
; TotalNumVgprs: 14
; ScratchSize: 0
; MemoryBound: 0
; FloatMode: 240
; IeeeMode: 1
; LDSByteSize: 0 bytes/workgroup (compile time only)
; SGPRBlocks: 3
; VGPRBlocks: 1
; NumSGPRsForWavesPerEU: 32
; NumVGPRsForWavesPerEU: 14
; AccumOffset: 16
; Occupancy: 8
; WaveLimiterHint : 1
; COMPUTE_PGM_RSRC2:SCRATCH_EN: 0
; COMPUTE_PGM_RSRC2:USER_SGPR: 6
; COMPUTE_PGM_RSRC2:TRAP_HANDLER: 0
; COMPUTE_PGM_RSRC2:TGID_X_EN: 1
; COMPUTE_PGM_RSRC2:TGID_Y_EN: 0
; COMPUTE_PGM_RSRC2:TGID_Z_EN: 0
; COMPUTE_PGM_RSRC2:TIDIG_COMP_CNT: 0
; COMPUTE_PGM_RSRC3_GFX90A:ACCUM_OFFSET: 3
; COMPUTE_PGM_RSRC3_GFX90A:TG_SPLIT: 0
	.section	.text._ZN2at6native12_GLOBAL__N_137compute_grad_weight_atomic_accumulateIfflEEvPKT1_PKT_S5_llS5_PKlS5_S5_S5_PT0_ll,"axG",@progbits,_ZN2at6native12_GLOBAL__N_137compute_grad_weight_atomic_accumulateIfflEEvPKT1_PKT_S5_llS5_PKlS5_S5_S5_PT0_ll,comdat
	.globl	_ZN2at6native12_GLOBAL__N_137compute_grad_weight_atomic_accumulateIfflEEvPKT1_PKT_S5_llS5_PKlS5_S5_S5_PT0_ll ; -- Begin function _ZN2at6native12_GLOBAL__N_137compute_grad_weight_atomic_accumulateIfflEEvPKT1_PKT_S5_llS5_PKlS5_S5_S5_PT0_ll
	.p2align	8
	.type	_ZN2at6native12_GLOBAL__N_137compute_grad_weight_atomic_accumulateIfflEEvPKT1_PKT_S5_llS5_PKlS5_S5_S5_PT0_ll,@function
_ZN2at6native12_GLOBAL__N_137compute_grad_weight_atomic_accumulateIfflEEvPKT1_PKT_S5_llS5_PKlS5_S5_S5_PT0_ll: ; @_ZN2at6native12_GLOBAL__N_137compute_grad_weight_atomic_accumulateIfflEEvPKT1_PKT_S5_llS5_PKlS5_S5_S5_PT0_ll
; %bb.0:
	s_load_dword s0, s[4:5], 0x74
	s_load_dwordx2 s[2:3], s[4:5], 0x60
	v_mov_b32_e32 v2, 0
	s_waitcnt lgkmcnt(0)
	s_and_b32 s0, s0, 0xffff
	s_mul_i32 s6, s6, s0
	v_add_u32_e32 v0, s6, v0
	v_ashrrev_i32_e32 v1, 31, v0
	v_or_b32_e32 v3, s3, v1
	v_cmp_ne_u64_e32 vcc, 0, v[2:3]
                                        ; implicit-def: $vgpr2_vgpr3
	s_and_saveexec_b64 s[0:1], vcc
	s_xor_b64 s[6:7], exec, s[0:1]
	s_cbranch_execz .LBB104_2
; %bb.1:
	s_ashr_i32 s8, s3, 31
	s_add_u32 s0, s2, s8
	s_mov_b32 s9, s8
	s_addc_u32 s1, s3, s8
	s_xor_b64 s[10:11], s[0:1], s[8:9]
	v_cvt_f32_u32_e32 v2, s10
	v_cvt_f32_u32_e32 v3, s11
	s_sub_u32 s0, 0, s10
	s_subb_u32 s1, 0, s11
	v_madmk_f32 v2, v3, 0x4f800000, v2
	v_rcp_f32_e32 v2, v2
	v_mul_f32_e32 v2, 0x5f7ffffc, v2
	v_mul_f32_e32 v3, 0x2f800000, v2
	v_trunc_f32_e32 v3, v3
	v_madmk_f32 v2, v3, 0xcf800000, v2
	v_cvt_u32_f32_e32 v3, v3
	v_cvt_u32_f32_e32 v2, v2
	v_mul_lo_u32 v4, s0, v3
	v_mul_hi_u32 v6, s0, v2
	v_mul_lo_u32 v5, s1, v2
	v_add_u32_e32 v4, v6, v4
	v_mul_lo_u32 v7, s0, v2
	v_add_u32_e32 v4, v4, v5
	v_mul_lo_u32 v6, v2, v4
	v_mul_hi_u32 v8, v2, v7
	v_mul_hi_u32 v5, v2, v4
	v_add_co_u32_e32 v6, vcc, v8, v6
	v_addc_co_u32_e32 v5, vcc, 0, v5, vcc
	v_mul_hi_u32 v9, v3, v7
	v_mul_lo_u32 v7, v3, v7
	v_add_co_u32_e32 v6, vcc, v6, v7
	v_mul_hi_u32 v8, v3, v4
	v_addc_co_u32_e32 v5, vcc, v5, v9, vcc
	v_addc_co_u32_e32 v6, vcc, 0, v8, vcc
	v_mul_lo_u32 v4, v3, v4
	v_add_co_u32_e32 v4, vcc, v5, v4
	v_addc_co_u32_e32 v5, vcc, 0, v6, vcc
	v_add_co_u32_e32 v2, vcc, v2, v4
	v_addc_co_u32_e32 v3, vcc, v3, v5, vcc
	v_mul_lo_u32 v4, s0, v3
	v_mul_hi_u32 v5, s0, v2
	v_add_u32_e32 v4, v5, v4
	v_mul_lo_u32 v5, s1, v2
	v_add_u32_e32 v4, v4, v5
	v_mul_lo_u32 v6, s0, v2
	v_mul_hi_u32 v7, v3, v6
	v_mul_lo_u32 v8, v3, v6
	v_mul_lo_u32 v10, v2, v4
	v_mul_hi_u32 v6, v2, v6
	v_mul_hi_u32 v9, v2, v4
	v_add_co_u32_e32 v6, vcc, v6, v10
	v_addc_co_u32_e32 v9, vcc, 0, v9, vcc
	v_add_co_u32_e32 v6, vcc, v6, v8
	v_mul_hi_u32 v5, v3, v4
	v_addc_co_u32_e32 v6, vcc, v9, v7, vcc
	v_addc_co_u32_e32 v5, vcc, 0, v5, vcc
	v_mul_lo_u32 v4, v3, v4
	v_add_co_u32_e32 v4, vcc, v6, v4
	v_addc_co_u32_e32 v5, vcc, 0, v5, vcc
	v_add_co_u32_e32 v6, vcc, v2, v4
	v_addc_co_u32_e32 v7, vcc, v3, v5, vcc
	v_mov_b32_e32 v2, v1
	v_mov_b32_e32 v3, v1
	v_add_co_u32_e32 v4, vcc, v0, v2
	v_addc_co_u32_e32 v5, vcc, v1, v3, vcc
	v_xor_b32_e32 v9, v4, v2
	v_xor_b32_e32 v8, v5, v3
	v_mad_u64_u32 v[4:5], s[0:1], v9, v7, 0
	v_mul_hi_u32 v10, v9, v6
	v_add_co_u32_e32 v10, vcc, v10, v4
	v_addc_co_u32_e32 v11, vcc, 0, v5, vcc
	v_mad_u64_u32 v[4:5], s[0:1], v8, v7, 0
	v_mad_u64_u32 v[6:7], s[0:1], v8, v6, 0
	v_add_co_u32_e32 v6, vcc, v10, v6
	v_addc_co_u32_e32 v6, vcc, v11, v7, vcc
	v_addc_co_u32_e32 v5, vcc, 0, v5, vcc
	v_add_co_u32_e32 v6, vcc, v6, v4
	v_addc_co_u32_e32 v7, vcc, 0, v5, vcc
	v_mul_lo_u32 v10, s11, v6
	v_mul_lo_u32 v11, s10, v7
	v_mad_u64_u32 v[4:5], s[0:1], s10, v6, 0
	v_add3_u32 v5, v5, v11, v10
	v_sub_u32_e32 v10, v8, v5
	v_mov_b32_e32 v11, s11
	v_sub_co_u32_e32 v4, vcc, v9, v4
	v_subb_co_u32_e64 v9, s[0:1], v10, v11, vcc
	v_subrev_co_u32_e64 v10, s[0:1], s10, v4
	v_subbrev_co_u32_e64 v9, s[0:1], 0, v9, s[0:1]
	v_cmp_le_u32_e64 s[0:1], s11, v9
	v_cndmask_b32_e64 v11, 0, -1, s[0:1]
	v_cmp_le_u32_e64 s[0:1], s10, v10
	v_cndmask_b32_e64 v10, 0, -1, s[0:1]
	v_cmp_eq_u32_e64 s[0:1], s11, v9
	v_cndmask_b32_e64 v9, v11, v10, s[0:1]
	v_add_co_u32_e64 v10, s[0:1], 2, v6
	v_subb_co_u32_e32 v5, vcc, v8, v5, vcc
	v_addc_co_u32_e64 v11, s[0:1], 0, v7, s[0:1]
	v_cmp_le_u32_e32 vcc, s11, v5
	v_add_co_u32_e64 v12, s[0:1], 1, v6
	v_cndmask_b32_e64 v8, 0, -1, vcc
	v_cmp_le_u32_e32 vcc, s10, v4
	v_addc_co_u32_e64 v13, s[0:1], 0, v7, s[0:1]
	v_cndmask_b32_e64 v4, 0, -1, vcc
	v_cmp_eq_u32_e32 vcc, s11, v5
	v_cmp_ne_u32_e64 s[0:1], 0, v9
	v_cndmask_b32_e32 v4, v8, v4, vcc
	v_cmp_ne_u32_e32 vcc, 0, v4
	v_cndmask_b32_e64 v5, v12, v10, s[0:1]
	v_cndmask_b32_e64 v9, v13, v11, s[0:1]
	v_cndmask_b32_e32 v5, v6, v5, vcc
	v_xor_b32_e32 v2, s8, v2
	v_cndmask_b32_e32 v4, v7, v9, vcc
	v_xor_b32_e32 v3, s8, v3
	v_xor_b32_e32 v5, v5, v2
	;; [unrolled: 1-line block ×3, first 2 shown]
	v_sub_co_u32_e32 v2, vcc, v5, v2
	v_subb_co_u32_e32 v3, vcc, v4, v3, vcc
.LBB104_2:
	s_or_saveexec_b64 s[0:1], s[6:7]
	s_load_dwordx16 s[8:23], s[4:5], 0x0
	s_xor_b64 exec, exec, s[0:1]
	s_cbranch_execz .LBB104_4
; %bb.3:
	v_cvt_f32_u32_e32 v2, s2
	s_sub_i32 s6, 0, s2
	v_rcp_iflag_f32_e32 v2, v2
	v_mul_f32_e32 v2, 0x4f7ffffe, v2
	v_cvt_u32_f32_e32 v2, v2
	v_mul_lo_u32 v3, s6, v2
	v_mul_hi_u32 v3, v2, v3
	v_add_u32_e32 v2, v2, v3
	v_mul_hi_u32 v2, v0, v2
	v_mul_lo_u32 v3, v2, s2
	v_sub_u32_e32 v3, v0, v3
	v_add_u32_e32 v4, 1, v2
	v_subrev_u32_e32 v5, s2, v3
	v_cmp_le_u32_e32 vcc, s2, v3
	v_cndmask_b32_e32 v3, v3, v5, vcc
	v_cndmask_b32_e32 v2, v2, v4, vcc
	v_add_u32_e32 v4, 1, v2
	v_cmp_le_u32_e32 vcc, s2, v3
	v_cndmask_b32_e32 v2, v2, v4, vcc
	v_mov_b32_e32 v3, 0
.LBB104_4:
	s_or_b64 exec, exec, s[0:1]
	v_mul_lo_u32 v3, v3, s2
	v_mul_lo_u32 v6, v2, s3
	v_mad_u64_u32 v[4:5], s[0:1], v2, s2, 0
	v_add3_u32 v3, v5, v6, v3
	v_sub_co_u32_e32 v8, vcc, v0, v4
	v_subb_co_u32_e32 v9, vcc, v1, v3, vcc
	s_waitcnt lgkmcnt(0)
	v_cmp_gt_i64_e32 vcc, s[16:17], v[8:9]
	s_and_saveexec_b64 s[0:1], vcc
	s_cbranch_execz .LBB104_17
; %bb.5:
	s_load_dwordx2 s[0:1], s[20:21], 0x0
	v_ashrrev_i32_e32 v3, 31, v2
	s_waitcnt lgkmcnt(0)
	v_cmp_gt_i64_e32 vcc, s[0:1], v[2:3]
	s_and_b64 exec, exec, vcc
	s_cbranch_execz .LBB104_17
; %bb.6:
	v_lshlrev_b64 v[0:1], 3, v[2:3]
	v_mov_b32_e32 v5, s19
	v_add_co_u32_e32 v4, vcc, s18, v0
	v_addc_co_u32_e32 v5, vcc, v5, v1, vcc
	global_load_dwordx2 v[4:5], v[4:5], off
	s_load_dwordx8 s[24:31], s[4:5], 0x40
	s_add_u32 s0, s0, -1
	s_addc_u32 s1, s1, -1
	v_cmp_ne_u64_e32 vcc, s[0:1], v[2:3]
	v_pk_mov_b32 v[6:7], s[14:15], s[14:15] op_sel:[0,1]
	s_and_saveexec_b64 s[0:1], vcc
	s_cbranch_execz .LBB104_8
; %bb.7:
	v_mov_b32_e32 v3, v2
	v_add_co_u32_e64 v2, vcc, 0, 0
	v_addc_co_u32_e32 v3, vcc, 1, v3, vcc
	v_ashrrev_i64 v[2:3], 29, v[2:3]
	v_mov_b32_e32 v6, s19
	v_add_co_u32_e32 v2, vcc, s18, v2
	v_addc_co_u32_e32 v3, vcc, v6, v3, vcc
	global_load_dwordx2 v[6:7], v[2:3], off
.LBB104_8:
	s_or_b64 exec, exec, s[0:1]
	s_waitcnt vmcnt(0)
	v_cmp_lt_i64_e32 vcc, v[4:5], v[6:7]
	v_mov_b32_e32 v14, 0
	v_lshlrev_b64 v[2:3], 2, v[8:9]
	s_and_saveexec_b64 s[2:3], vcc
	s_cbranch_execz .LBB104_15
; %bb.9:
	v_mov_b32_e32 v8, s11
	v_add_co_u32_e32 v15, vcc, s10, v2
	v_addc_co_u32_e32 v16, vcc, v8, v3, vcc
	v_lshlrev_b64 v[10:11], 3, v[4:5]
	v_mov_b32_e32 v9, s13
	v_add_co_u32_e32 v8, vcc, s12, v10
	s_cmp_lg_u64 s[12:13], 0
	v_addc_co_u32_e32 v9, vcc, v9, v11, vcc
	v_mov_b32_e32 v12, s9
	v_add_co_u32_e32 v10, vcc, s8, v10
	s_cselect_b64 s[0:1], -1, 0
	v_addc_co_u32_e32 v11, vcc, v12, v11, vcc
	v_cndmask_b32_e64 v12, 0, 1, s[0:1]
	s_mov_b64 s[4:5], 0
	v_mov_b32_e32 v14, 0
	v_cmp_ne_u32_e64 s[0:1], 1, v12
	s_branch .LBB104_12
.LBB104_10:                             ;   in Loop: Header=BB104_12 Depth=1
	global_load_dwordx2 v[18:19], v[8:9], off
	s_waitcnt vmcnt(0)
	v_xor_b32_e32 v20, v18, v19
	v_ffbh_i32_e32 v17, v19
	v_ashrrev_i32_e32 v20, 31, v20
	v_add_u32_e32 v17, -1, v17
	v_add_u32_e32 v20, 32, v20
	v_min_u32_e32 v17, v17, v20
	v_lshlrev_b64 v[18:19], v17, v[18:19]
	v_min_u32_e32 v18, 1, v18
	v_or_b32_e32 v18, v19, v18
	v_cvt_f32_i32_e32 v18, v18
	v_sub_u32_e32 v17, 32, v17
	v_ldexp_f32 v17, v18, v17
	v_div_scale_f32 v18, s[6:7], v17, v17, 1.0
	v_rcp_f32_e32 v19, v18
	v_div_scale_f32 v20, vcc, 1.0, v17, 1.0
	v_fma_f32 v21, -v18, v19, 1.0
	v_fmac_f32_e32 v19, v21, v19
	v_mul_f32_e32 v21, v20, v19
	v_fma_f32 v22, -v18, v21, v20
	v_fmac_f32_e32 v21, v22, v19
	v_fma_f32 v18, -v18, v21, v20
	v_div_fmas_f32 v18, v18, v19, v21
	v_div_fixup_f32 v17, v18, v17, 1.0
.LBB104_11:                             ;   in Loop: Header=BB104_12 Depth=1
	s_waitcnt vmcnt(0)
	v_mul_lo_u32 v18, v13, s16
	v_mul_lo_u32 v19, v12, s17
	v_mad_u64_u32 v[12:13], s[6:7], v12, s16, 0
	v_add3_u32 v13, v13, v19, v18
	v_lshlrev_b64 v[12:13], 2, v[12:13]
	v_add_co_u32_e32 v12, vcc, v15, v12
	v_addc_co_u32_e32 v13, vcc, v16, v13, vcc
	global_load_dword v12, v[12:13], off
	v_add_co_u32_e32 v4, vcc, 1, v4
	v_addc_co_u32_e32 v5, vcc, 0, v5, vcc
	v_add_co_u32_e32 v8, vcc, 8, v8
	v_addc_co_u32_e32 v9, vcc, 0, v9, vcc
	v_cmp_ge_i64_e32 vcc, v[4:5], v[6:7]
	s_or_b64 s[4:5], vcc, s[4:5]
	v_add_co_u32_e32 v10, vcc, 8, v10
	v_addc_co_u32_e32 v11, vcc, 0, v11, vcc
	s_waitcnt vmcnt(0)
	v_fmac_f32_e32 v14, v17, v12
	s_andn2_b64 exec, exec, s[4:5]
	s_cbranch_execz .LBB104_14
.LBB104_12:                             ; =>This Inner Loop Header: Depth=1
	global_load_dwordx2 v[12:13], v[10:11], off
	s_and_b64 vcc, exec, s[0:1]
	s_cbranch_vccz .LBB104_10
; %bb.13:                               ;   in Loop: Header=BB104_12 Depth=1
	v_mov_b32_e32 v17, 1.0
	s_branch .LBB104_11
.LBB104_14:
	s_or_b64 exec, exec, s[4:5]
.LBB104_15:
	s_or_b64 exec, exec, s[2:3]
	s_waitcnt lgkmcnt(0)
	v_mov_b32_e32 v4, s25
	v_add_co_u32_e32 v0, vcc, s24, v0
	v_addc_co_u32_e32 v1, vcc, v4, v1, vcc
	global_load_dwordx2 v[0:1], v[0:1], off
	v_mov_b32_e32 v4, s27
	s_waitcnt vmcnt(0)
	v_lshlrev_b64 v[0:1], 3, v[0:1]
	v_add_co_u32_e32 v0, vcc, s26, v0
	v_addc_co_u32_e32 v1, vcc, v4, v1, vcc
	global_load_dwordx2 v[0:1], v[0:1], off
	v_mov_b32_e32 v4, s23
	s_waitcnt vmcnt(0)
	v_lshlrev_b64 v[0:1], 3, v[0:1]
	v_add_co_u32_e32 v0, vcc, s22, v0
	v_addc_co_u32_e32 v1, vcc, v4, v1, vcc
	global_load_dwordx2 v[0:1], v[0:1], off
	s_waitcnt vmcnt(0)
	v_cmp_ne_u64_e32 vcc, s[30:31], v[0:1]
	s_and_b64 exec, exec, vcc
	s_cbranch_execz .LBB104_17
; %bb.16:
	v_mul_lo_u32 v4, v1, s16
	v_mul_lo_u32 v5, v0, s17
	v_mad_u64_u32 v[0:1], s[0:1], v0, s16, 0
	v_add3_u32 v1, v1, v5, v4
	v_lshlrev_b64 v[0:1], 2, v[0:1]
	v_mov_b32_e32 v4, s29
	v_add_co_u32_e32 v0, vcc, s28, v0
	v_addc_co_u32_e32 v1, vcc, v4, v1, vcc
	v_add_co_u32_e32 v0, vcc, v0, v2
	v_addc_co_u32_e32 v1, vcc, v1, v3, vcc
	global_atomic_add_f32 v[0:1], v14, off
.LBB104_17:
	s_endpgm
	.section	.rodata,"a",@progbits
	.p2align	6, 0x0
	.amdhsa_kernel _ZN2at6native12_GLOBAL__N_137compute_grad_weight_atomic_accumulateIfflEEvPKT1_PKT_S5_llS5_PKlS5_S5_S5_PT0_ll
		.amdhsa_group_segment_fixed_size 0
		.amdhsa_private_segment_fixed_size 0
		.amdhsa_kernarg_size 360
		.amdhsa_user_sgpr_count 6
		.amdhsa_user_sgpr_private_segment_buffer 1
		.amdhsa_user_sgpr_dispatch_ptr 0
		.amdhsa_user_sgpr_queue_ptr 0
		.amdhsa_user_sgpr_kernarg_segment_ptr 1
		.amdhsa_user_sgpr_dispatch_id 0
		.amdhsa_user_sgpr_flat_scratch_init 0
		.amdhsa_user_sgpr_kernarg_preload_length 0
		.amdhsa_user_sgpr_kernarg_preload_offset 0
		.amdhsa_user_sgpr_private_segment_size 0
		.amdhsa_uses_dynamic_stack 0
		.amdhsa_system_sgpr_private_segment_wavefront_offset 0
		.amdhsa_system_sgpr_workgroup_id_x 1
		.amdhsa_system_sgpr_workgroup_id_y 0
		.amdhsa_system_sgpr_workgroup_id_z 0
		.amdhsa_system_sgpr_workgroup_info 0
		.amdhsa_system_vgpr_workitem_id 0
		.amdhsa_next_free_vgpr 23
		.amdhsa_next_free_sgpr 32
		.amdhsa_accum_offset 24
		.amdhsa_reserve_vcc 1
		.amdhsa_reserve_flat_scratch 0
		.amdhsa_float_round_mode_32 0
		.amdhsa_float_round_mode_16_64 0
		.amdhsa_float_denorm_mode_32 3
		.amdhsa_float_denorm_mode_16_64 3
		.amdhsa_dx10_clamp 1
		.amdhsa_ieee_mode 1
		.amdhsa_fp16_overflow 0
		.amdhsa_tg_split 0
		.amdhsa_exception_fp_ieee_invalid_op 0
		.amdhsa_exception_fp_denorm_src 0
		.amdhsa_exception_fp_ieee_div_zero 0
		.amdhsa_exception_fp_ieee_overflow 0
		.amdhsa_exception_fp_ieee_underflow 0
		.amdhsa_exception_fp_ieee_inexact 0
		.amdhsa_exception_int_div_zero 0
	.end_amdhsa_kernel
	.section	.text._ZN2at6native12_GLOBAL__N_137compute_grad_weight_atomic_accumulateIfflEEvPKT1_PKT_S5_llS5_PKlS5_S5_S5_PT0_ll,"axG",@progbits,_ZN2at6native12_GLOBAL__N_137compute_grad_weight_atomic_accumulateIfflEEvPKT1_PKT_S5_llS5_PKlS5_S5_S5_PT0_ll,comdat
.Lfunc_end104:
	.size	_ZN2at6native12_GLOBAL__N_137compute_grad_weight_atomic_accumulateIfflEEvPKT1_PKT_S5_llS5_PKlS5_S5_S5_PT0_ll, .Lfunc_end104-_ZN2at6native12_GLOBAL__N_137compute_grad_weight_atomic_accumulateIfflEEvPKT1_PKT_S5_llS5_PKlS5_S5_S5_PT0_ll
                                        ; -- End function
	.section	.AMDGPU.csdata,"",@progbits
; Kernel info:
; codeLenInByte = 1632
; NumSgprs: 36
; NumVgprs: 23
; NumAgprs: 0
; TotalNumVgprs: 23
; ScratchSize: 0
; MemoryBound: 0
; FloatMode: 240
; IeeeMode: 1
; LDSByteSize: 0 bytes/workgroup (compile time only)
; SGPRBlocks: 4
; VGPRBlocks: 2
; NumSGPRsForWavesPerEU: 36
; NumVGPRsForWavesPerEU: 23
; AccumOffset: 24
; Occupancy: 8
; WaveLimiterHint : 1
; COMPUTE_PGM_RSRC2:SCRATCH_EN: 0
; COMPUTE_PGM_RSRC2:USER_SGPR: 6
; COMPUTE_PGM_RSRC2:TRAP_HANDLER: 0
; COMPUTE_PGM_RSRC2:TGID_X_EN: 1
; COMPUTE_PGM_RSRC2:TGID_Y_EN: 0
; COMPUTE_PGM_RSRC2:TGID_Z_EN: 0
; COMPUTE_PGM_RSRC2:TIDIG_COMP_CNT: 0
; COMPUTE_PGM_RSRC3_GFX90A:ACCUM_OFFSET: 5
; COMPUTE_PGM_RSRC3_GFX90A:TG_SPLIT: 0
	.section	.text._ZN2at6native12_GLOBAL__N_124compute_grad_weight_bagsIflEEvPKT0_PKT_S5_S5_lliS5_S8_lS5_PKlPNS_14AccumulateTypeIS6_Lb1EE4typeEl,"axG",@progbits,_ZN2at6native12_GLOBAL__N_124compute_grad_weight_bagsIflEEvPKT0_PKT_S5_S5_lliS5_S8_lS5_PKlPNS_14AccumulateTypeIS6_Lb1EE4typeEl,comdat
	.globl	_ZN2at6native12_GLOBAL__N_124compute_grad_weight_bagsIflEEvPKT0_PKT_S5_S5_lliS5_S8_lS5_PKlPNS_14AccumulateTypeIS6_Lb1EE4typeEl ; -- Begin function _ZN2at6native12_GLOBAL__N_124compute_grad_weight_bagsIflEEvPKT0_PKT_S5_S5_lliS5_S8_lS5_PKlPNS_14AccumulateTypeIS6_Lb1EE4typeEl
	.p2align	8
	.type	_ZN2at6native12_GLOBAL__N_124compute_grad_weight_bagsIflEEvPKT0_PKT_S5_S5_lliS5_S8_lS5_PKlPNS_14AccumulateTypeIS6_Lb1EE4typeEl,@function
_ZN2at6native12_GLOBAL__N_124compute_grad_weight_bagsIflEEvPKT0_PKT_S5_S5_lliS5_S8_lS5_PKlPNS_14AccumulateTypeIS6_Lb1EE4typeEl: ; @_ZN2at6native12_GLOBAL__N_124compute_grad_weight_bagsIflEEvPKT0_PKT_S5_S5_lliS5_S8_lS5_PKlPNS_14AccumulateTypeIS6_Lb1EE4typeEl
; %bb.0:
	s_load_dword s0, s[4:5], 0x7c
	s_load_dwordx4 s[24:27], s[4:5], 0x58
	s_load_dwordx2 s[2:3], s[4:5], 0x68
	v_mov_b32_e32 v1, 0
	v_mov_b32_e32 v2, s6
	s_waitcnt lgkmcnt(0)
	s_and_b32 s0, s0, 0xffff
	v_mad_u64_u32 v[2:3], s[0:1], s0, v2, v[0:1]
	v_or_b32_e32 v5, s3, v3
	v_mov_b32_e32 v4, v1
	v_cmp_ne_u64_e32 vcc, 0, v[4:5]
                                        ; implicit-def: $vgpr0_vgpr1
	s_and_saveexec_b64 s[0:1], vcc
	s_xor_b64 s[6:7], exec, s[0:1]
	s_cbranch_execz .LBB105_2
; %bb.1:
	s_ashr_i32 s8, s3, 31
	s_add_u32 s0, s2, s8
	s_mov_b32 s9, s8
	s_addc_u32 s1, s3, s8
	s_xor_b64 s[10:11], s[0:1], s[8:9]
	v_cvt_f32_u32_e32 v0, s10
	v_cvt_f32_u32_e32 v1, s11
	s_sub_u32 s0, 0, s10
	s_subb_u32 s1, 0, s11
	v_madmk_f32 v0, v1, 0x4f800000, v0
	v_rcp_f32_e32 v0, v0
	v_mul_f32_e32 v0, 0x5f7ffffc, v0
	v_mul_f32_e32 v1, 0x2f800000, v0
	v_trunc_f32_e32 v1, v1
	v_madmk_f32 v0, v1, 0xcf800000, v0
	v_cvt_u32_f32_e32 v1, v1
	v_cvt_u32_f32_e32 v0, v0
	v_mul_lo_u32 v4, s0, v1
	v_mul_hi_u32 v6, s0, v0
	v_mul_lo_u32 v5, s1, v0
	v_add_u32_e32 v4, v6, v4
	v_mul_lo_u32 v7, s0, v0
	v_add_u32_e32 v4, v4, v5
	v_mul_lo_u32 v6, v0, v4
	v_mul_hi_u32 v8, v0, v7
	v_mul_hi_u32 v5, v0, v4
	v_add_co_u32_e32 v6, vcc, v8, v6
	v_addc_co_u32_e32 v5, vcc, 0, v5, vcc
	v_mul_hi_u32 v9, v1, v7
	v_mul_lo_u32 v7, v1, v7
	v_add_co_u32_e32 v6, vcc, v6, v7
	v_mul_hi_u32 v8, v1, v4
	v_addc_co_u32_e32 v5, vcc, v5, v9, vcc
	v_addc_co_u32_e32 v6, vcc, 0, v8, vcc
	v_mul_lo_u32 v4, v1, v4
	v_add_co_u32_e32 v4, vcc, v5, v4
	v_addc_co_u32_e32 v5, vcc, 0, v6, vcc
	v_add_co_u32_e32 v0, vcc, v0, v4
	v_addc_co_u32_e32 v1, vcc, v1, v5, vcc
	v_mul_lo_u32 v4, s0, v1
	v_mul_hi_u32 v5, s0, v0
	v_add_u32_e32 v4, v5, v4
	v_mul_lo_u32 v5, s1, v0
	v_add_u32_e32 v4, v4, v5
	v_mul_lo_u32 v6, s0, v0
	v_mul_hi_u32 v7, v1, v6
	v_mul_lo_u32 v8, v1, v6
	v_mul_lo_u32 v10, v0, v4
	v_mul_hi_u32 v6, v0, v6
	v_mul_hi_u32 v9, v0, v4
	v_add_co_u32_e32 v6, vcc, v6, v10
	v_addc_co_u32_e32 v9, vcc, 0, v9, vcc
	v_add_co_u32_e32 v6, vcc, v6, v8
	v_mul_hi_u32 v5, v1, v4
	v_addc_co_u32_e32 v6, vcc, v9, v7, vcc
	v_addc_co_u32_e32 v5, vcc, 0, v5, vcc
	v_mul_lo_u32 v4, v1, v4
	v_add_co_u32_e32 v4, vcc, v6, v4
	v_addc_co_u32_e32 v5, vcc, 0, v5, vcc
	v_add_co_u32_e32 v4, vcc, v0, v4
	v_addc_co_u32_e32 v5, vcc, v1, v5, vcc
	v_ashrrev_i32_e32 v6, 31, v3
	v_add_co_u32_e32 v0, vcc, v2, v6
	v_addc_co_u32_e32 v1, vcc, v3, v6, vcc
	v_xor_b32_e32 v8, v0, v6
	v_xor_b32_e32 v7, v1, v6
	v_mad_u64_u32 v[0:1], s[0:1], v8, v5, 0
	v_mul_hi_u32 v9, v8, v4
	v_add_co_u32_e32 v9, vcc, v9, v0
	v_addc_co_u32_e32 v10, vcc, 0, v1, vcc
	v_mad_u64_u32 v[0:1], s[0:1], v7, v5, 0
	v_mad_u64_u32 v[4:5], s[0:1], v7, v4, 0
	v_add_co_u32_e32 v4, vcc, v9, v4
	v_addc_co_u32_e32 v4, vcc, v10, v5, vcc
	v_addc_co_u32_e32 v1, vcc, 0, v1, vcc
	v_add_co_u32_e32 v4, vcc, v4, v0
	v_addc_co_u32_e32 v5, vcc, 0, v1, vcc
	v_mul_lo_u32 v9, s11, v4
	v_mul_lo_u32 v10, s10, v5
	v_mad_u64_u32 v[0:1], s[0:1], s10, v4, 0
	v_add3_u32 v1, v1, v10, v9
	v_sub_u32_e32 v9, v7, v1
	v_mov_b32_e32 v10, s11
	v_sub_co_u32_e32 v0, vcc, v8, v0
	v_subb_co_u32_e64 v8, s[0:1], v9, v10, vcc
	v_subrev_co_u32_e64 v9, s[0:1], s10, v0
	v_subbrev_co_u32_e64 v8, s[0:1], 0, v8, s[0:1]
	v_cmp_le_u32_e64 s[0:1], s11, v8
	v_cndmask_b32_e64 v10, 0, -1, s[0:1]
	v_cmp_le_u32_e64 s[0:1], s10, v9
	v_cndmask_b32_e64 v9, 0, -1, s[0:1]
	v_cmp_eq_u32_e64 s[0:1], s11, v8
	v_cndmask_b32_e64 v8, v10, v9, s[0:1]
	v_add_co_u32_e64 v9, s[0:1], 2, v4
	v_subb_co_u32_e32 v1, vcc, v7, v1, vcc
	v_addc_co_u32_e64 v10, s[0:1], 0, v5, s[0:1]
	v_cmp_le_u32_e32 vcc, s11, v1
	v_add_co_u32_e64 v11, s[0:1], 1, v4
	v_cndmask_b32_e64 v7, 0, -1, vcc
	v_cmp_le_u32_e32 vcc, s10, v0
	v_addc_co_u32_e64 v12, s[0:1], 0, v5, s[0:1]
	v_cndmask_b32_e64 v0, 0, -1, vcc
	v_cmp_eq_u32_e32 vcc, s11, v1
	v_cmp_ne_u32_e64 s[0:1], 0, v8
	v_cndmask_b32_e32 v0, v7, v0, vcc
	v_cndmask_b32_e64 v8, v12, v10, s[0:1]
	v_cmp_ne_u32_e32 vcc, 0, v0
	v_cndmask_b32_e64 v1, v11, v9, s[0:1]
	v_cndmask_b32_e32 v0, v5, v8, vcc
	v_cndmask_b32_e32 v1, v4, v1, vcc
	v_xor_b32_e32 v4, s8, v6
	v_xor_b32_e32 v5, v0, v4
	;; [unrolled: 1-line block ×3, first 2 shown]
	v_sub_co_u32_e32 v0, vcc, v0, v4
	v_subb_co_u32_e32 v1, vcc, v5, v4, vcc
.LBB105_2:
	s_or_saveexec_b64 s[0:1], s[6:7]
	s_load_dwordx2 s[6:7], s[24:25], 0x0
	s_xor_b64 exec, exec, s[0:1]
	s_cbranch_execz .LBB105_4
; %bb.3:
	v_cvt_f32_u32_e32 v0, s2
	s_sub_i32 s8, 0, s2
	v_rcp_iflag_f32_e32 v0, v0
	v_mul_f32_e32 v0, 0x4f7ffffe, v0
	v_cvt_u32_f32_e32 v0, v0
	v_mul_lo_u32 v1, s8, v0
	v_mul_hi_u32 v1, v0, v1
	v_add_u32_e32 v0, v0, v1
	v_mul_hi_u32 v0, v2, v0
	v_mul_lo_u32 v1, v0, s2
	v_sub_u32_e32 v1, v2, v1
	v_add_u32_e32 v4, 1, v0
	v_subrev_u32_e32 v5, s2, v1
	v_cmp_le_u32_e32 vcc, s2, v1
	v_cndmask_b32_e32 v1, v1, v5, vcc
	v_cndmask_b32_e32 v0, v0, v4, vcc
	v_add_u32_e32 v4, 1, v0
	v_cmp_le_u32_e32 vcc, s2, v1
	v_cndmask_b32_e32 v0, v0, v4, vcc
	v_mov_b32_e32 v1, 0
.LBB105_4:
	s_or_b64 exec, exec, s[0:1]
	s_load_dwordx4 s[28:31], s[4:5], 0x20
	v_mul_lo_u32 v6, v1, s2
	v_mul_lo_u32 v7, v0, s3
	v_mad_u64_u32 v[4:5], s[0:1], v0, s2, 0
	v_add3_u32 v5, v5, v7, v6
	v_sub_co_u32_e32 v4, vcc, v2, v4
	v_subb_co_u32_e32 v5, vcc, v3, v5, vcc
	s_waitcnt lgkmcnt(0)
	v_cmp_gt_i64_e32 vcc, s[30:31], v[4:5]
	v_cmp_gt_i64_e64 s[0:1], s[6:7], v[0:1]
	s_and_b64 s[0:1], vcc, s[0:1]
	s_and_saveexec_b64 s[2:3], s[0:1]
	s_cbranch_execz .LBB105_18
; %bb.5:
	s_load_dwordx8 s[8:15], s[4:5], 0x38
	v_lshlrev_b64 v[2:3], 3, v[0:1]
	s_load_dwordx8 s[16:23], s[4:5], 0x0
	s_add_u32 s0, s6, -1
	s_addc_u32 s1, s7, -1
	s_waitcnt lgkmcnt(0)
	v_mov_b32_e32 v6, s15
	v_add_co_u32_e32 v8, vcc, s14, v2
	v_addc_co_u32_e32 v9, vcc, v6, v3, vcc
	global_load_dwordx2 v[2:3], v[8:9], off
	v_cmp_ne_u64_e32 vcc, s[0:1], v[0:1]
	v_pk_mov_b32 v[6:7], s[28:29], s[28:29] op_sel:[0,1]
	s_and_saveexec_b64 s[0:1], vcc
	s_cbranch_execz .LBB105_7
; %bb.6:
	global_load_dwordx2 v[6:7], v[8:9], off offset:8
.LBB105_7:
	s_or_b64 exec, exec, s[0:1]
	s_waitcnt vmcnt(0)
	v_cmp_lt_i32_e32 vcc, v2, v6
	v_mov_b32_e32 v3, 0
	v_lshlrev_b64 v[4:5], 2, v[4:5]
	s_and_saveexec_b64 s[6:7], vcc
	s_cbranch_execz .LBB105_17
; %bb.8:
	v_mov_b32_e32 v3, s19
	v_add_co_u32_e32 v7, vcc, s18, v4
	v_addc_co_u32_e32 v20, vcc, v3, v5, vcc
	v_ashrrev_i32_e32 v3, 31, v2
	s_load_dword s14, s[4:5], 0x30
	v_lshlrev_b64 v[10:11], 3, v[2:3]
	v_mov_b32_e32 v3, s17
	v_add_co_u32_e32 v8, vcc, s16, v10
	s_cmp_lg_u64 s[22:23], 0
	v_addc_co_u32_e32 v9, vcc, v3, v11, vcc
	s_cselect_b64 s[0:1], -1, 0
	s_cmp_lg_u64 s[10:11], 0
	v_mov_b32_e32 v3, s23
	v_add_co_u32_e32 v10, vcc, s22, v10
	s_cselect_b64 s[2:3], -1, 0
	v_addc_co_u32_e32 v11, vcc, v3, v11, vcc
	v_cndmask_b32_e64 v3, 0, 1, s[0:1]
	s_waitcnt lgkmcnt(0)
	s_cmp_lg_u32 s14, 0
	v_cmp_ne_u32_e64 s[0:1], 1, v3
	v_cndmask_b32_e64 v3, 0, 1, s[2:3]
	s_mov_b64 s[4:5], 0
	s_mov_b32 s18, s30
	s_cselect_b64 s[14:15], -1, 0
	v_mov_b32_e32 v12, 0
	v_mov_b32_e32 v21, s21
	v_cmp_ne_u32_e64 s[2:3], 1, v3
	v_mov_b32_e32 v3, 0
	s_branch .LBB105_10
.LBB105_9:                              ;   in Loop: Header=BB105_10 Depth=1
	v_add_co_u32_e32 v8, vcc, 8, v8
	v_add_u32_e32 v2, 1, v2
	v_addc_co_u32_e32 v9, vcc, 0, v9, vcc
	v_cmp_ge_i32_e32 vcc, v2, v6
	s_or_b64 s[4:5], vcc, s[4:5]
	v_add_co_u32_e32 v10, vcc, 8, v10
	s_waitcnt vmcnt(0)
	v_fmac_f32_e32 v3, v18, v15
	v_addc_co_u32_e32 v11, vcc, 0, v11, vcc
	s_andn2_b64 exec, exec, s[4:5]
	s_cbranch_execz .LBB105_16
.LBB105_10:                             ; =>This Inner Loop Header: Depth=1
	global_load_dword v16, v[8:9], off
	s_waitcnt vmcnt(0)
	v_ashrrev_i32_e32 v17, 31, v16
	v_lshlrev_b64 v[14:15], 3, v[16:17]
	v_add_co_u32_e32 v14, vcc, s20, v14
	v_addc_co_u32_e32 v15, vcc, v21, v15, vcc
	global_load_dwordx2 v[14:15], v[14:15], off
	s_and_b64 vcc, exec, s[0:1]
	s_cbranch_vccnz .LBB105_15
; %bb.11:                               ;   in Loop: Header=BB105_10 Depth=1
	global_load_dwordx2 v[18:19], v[10:11], off
	s_waitcnt vmcnt(0)
	v_cvt_f64_i32_e32 v[22:23], v19
	v_cvt_f64_u32_e32 v[18:19], v18
	v_ldexp_f64 v[22:23], v[22:23], 32
	v_add_f64 v[18:19], v[22:23], v[18:19]
	v_div_scale_f64 v[22:23], s[16:17], v[18:19], v[18:19], 1.0
	v_rcp_f64_e32 v[24:25], v[22:23]
	v_div_scale_f64 v[26:27], vcc, 1.0, v[18:19], 1.0
	v_fma_f64 v[28:29], -v[22:23], v[24:25], 1.0
	v_fmac_f64_e32 v[24:25], v[24:25], v[28:29]
	v_fma_f64 v[28:29], -v[22:23], v[24:25], 1.0
	v_fmac_f64_e32 v[24:25], v[24:25], v[28:29]
	v_mul_f64 v[28:29], v[26:27], v[24:25]
	v_fma_f64 v[22:23], -v[22:23], v[28:29], v[26:27]
	v_div_fmas_f64 v[22:23], v[22:23], v[24:25], v[28:29]
	v_div_fixup_f64 v[18:19], v[22:23], v[18:19], 1.0
	s_and_b64 vcc, exec, s[2:3]
	v_cvt_f32_f64_e32 v18, v[18:19]
	s_cbranch_vccnz .LBB105_13
.LBB105_12:                             ;   in Loop: Header=BB105_10 Depth=1
	v_mul_lo_u32 v13, v17, s12
	v_mul_lo_u32 v19, v16, s13
	v_mad_u64_u32 v[16:17], s[16:17], v16, s12, 0
	v_add3_u32 v17, v17, v19, v13
	v_lshlrev_b64 v[16:17], 2, v[16:17]
	v_mov_b32_e32 v13, s11
	v_add_co_u32_e32 v16, vcc, s10, v16
	v_addc_co_u32_e32 v17, vcc, v13, v17, vcc
	global_load_dword v13, v[16:17], off
	s_waitcnt vmcnt(0)
	v_mul_f32_e32 v18, v13, v18
.LBB105_13:                             ;   in Loop: Header=BB105_10 Depth=1
	s_waitcnt vmcnt(0)
	v_mul_lo_u32 v13, s18, v14
	v_mul_lo_u32 v15, 0, v15
	v_mad_u64_u32 v[16:17], s[16:17], 0, v14, 0
	v_add3_u32 v17, v17, v15, v13
	v_ashrrev_i64 v[16:17], 30, v[16:17]
	v_add_co_u32_e32 v16, vcc, v7, v16
	v_addc_co_u32_e32 v17, vcc, v20, v17, vcc
	global_load_dword v15, v[16:17], off
	s_andn2_b64 vcc, exec, s[14:15]
	s_cbranch_vccnz .LBB105_9
; %bb.14:                               ;   in Loop: Header=BB105_10 Depth=1
	v_mov_b32_e32 v13, v14
	v_ashrrev_i64 v[16:17], 29, v[12:13]
	v_mov_b32_e32 v13, s9
	v_add_co_u32_e32 v16, vcc, s8, v16
	v_addc_co_u32_e32 v17, vcc, v13, v17, vcc
	global_load_dwordx2 v[16:17], v[16:17], off
	s_waitcnt vmcnt(0)
	v_xor_b32_e32 v13, v16, v17
	v_ffbh_i32_e32 v14, v17
	v_ashrrev_i32_e32 v13, 31, v13
	v_add_u32_e32 v14, -1, v14
	v_add_u32_e32 v13, 32, v13
	v_min_u32_e32 v13, v14, v13
	v_lshlrev_b64 v[16:17], v13, v[16:17]
	v_min_u32_e32 v14, 1, v16
	v_or_b32_e32 v14, v17, v14
	v_cvt_f32_i32_e32 v14, v14
	v_sub_u32_e32 v13, 32, v13
	v_ldexp_f32 v13, v14, v13
	v_div_scale_f32 v14, s[16:17], v13, v13, v15
	v_rcp_f32_e32 v16, v14
	v_div_scale_f32 v17, vcc, v15, v13, v15
	v_fma_f32 v19, -v14, v16, 1.0
	v_fmac_f32_e32 v16, v19, v16
	v_mul_f32_e32 v19, v17, v16
	v_fma_f32 v22, -v14, v19, v17
	v_fmac_f32_e32 v19, v22, v16
	v_fma_f32 v14, -v14, v19, v17
	v_div_fmas_f32 v14, v14, v16, v19
	v_div_fixup_f32 v15, v14, v13, v15
	s_branch .LBB105_9
.LBB105_15:                             ;   in Loop: Header=BB105_10 Depth=1
	v_mov_b32_e32 v18, 0
	v_mov_b32_e32 v19, 0x3ff00000
	s_and_b64 vcc, exec, s[2:3]
	v_cvt_f32_f64_e32 v18, v[18:19]
	s_cbranch_vccz .LBB105_12
	s_branch .LBB105_13
.LBB105_16:
	s_or_b64 exec, exec, s[4:5]
.LBB105_17:
	s_or_b64 exec, exec, s[6:7]
	v_mul_lo_u32 v2, v1, s30
	v_mul_lo_u32 v6, v0, s31
	v_mad_u64_u32 v[0:1], s[0:1], v0, s30, 0
	v_add3_u32 v1, v1, v6, v2
	v_lshlrev_b64 v[0:1], 2, v[0:1]
	v_mov_b32_e32 v2, s27
	v_add_co_u32_e32 v0, vcc, s26, v0
	v_addc_co_u32_e32 v1, vcc, v2, v1, vcc
	v_add_co_u32_e32 v0, vcc, v0, v4
	v_addc_co_u32_e32 v1, vcc, v1, v5, vcc
	global_store_dword v[0:1], v3, off
.LBB105_18:
	s_endpgm
	.section	.rodata,"a",@progbits
	.p2align	6, 0x0
	.amdhsa_kernel _ZN2at6native12_GLOBAL__N_124compute_grad_weight_bagsIflEEvPKT0_PKT_S5_S5_lliS5_S8_lS5_PKlPNS_14AccumulateTypeIS6_Lb1EE4typeEl
		.amdhsa_group_segment_fixed_size 0
		.amdhsa_private_segment_fixed_size 0
		.amdhsa_kernarg_size 368
		.amdhsa_user_sgpr_count 6
		.amdhsa_user_sgpr_private_segment_buffer 1
		.amdhsa_user_sgpr_dispatch_ptr 0
		.amdhsa_user_sgpr_queue_ptr 0
		.amdhsa_user_sgpr_kernarg_segment_ptr 1
		.amdhsa_user_sgpr_dispatch_id 0
		.amdhsa_user_sgpr_flat_scratch_init 0
		.amdhsa_user_sgpr_kernarg_preload_length 0
		.amdhsa_user_sgpr_kernarg_preload_offset 0
		.amdhsa_user_sgpr_private_segment_size 0
		.amdhsa_uses_dynamic_stack 0
		.amdhsa_system_sgpr_private_segment_wavefront_offset 0
		.amdhsa_system_sgpr_workgroup_id_x 1
		.amdhsa_system_sgpr_workgroup_id_y 0
		.amdhsa_system_sgpr_workgroup_id_z 0
		.amdhsa_system_sgpr_workgroup_info 0
		.amdhsa_system_vgpr_workitem_id 0
		.amdhsa_next_free_vgpr 30
		.amdhsa_next_free_sgpr 32
		.amdhsa_accum_offset 32
		.amdhsa_reserve_vcc 1
		.amdhsa_reserve_flat_scratch 0
		.amdhsa_float_round_mode_32 0
		.amdhsa_float_round_mode_16_64 0
		.amdhsa_float_denorm_mode_32 3
		.amdhsa_float_denorm_mode_16_64 3
		.amdhsa_dx10_clamp 1
		.amdhsa_ieee_mode 1
		.amdhsa_fp16_overflow 0
		.amdhsa_tg_split 0
		.amdhsa_exception_fp_ieee_invalid_op 0
		.amdhsa_exception_fp_denorm_src 0
		.amdhsa_exception_fp_ieee_div_zero 0
		.amdhsa_exception_fp_ieee_overflow 0
		.amdhsa_exception_fp_ieee_underflow 0
		.amdhsa_exception_fp_ieee_inexact 0
		.amdhsa_exception_int_div_zero 0
	.end_amdhsa_kernel
	.section	.text._ZN2at6native12_GLOBAL__N_124compute_grad_weight_bagsIflEEvPKT0_PKT_S5_S5_lliS5_S8_lS5_PKlPNS_14AccumulateTypeIS6_Lb1EE4typeEl,"axG",@progbits,_ZN2at6native12_GLOBAL__N_124compute_grad_weight_bagsIflEEvPKT0_PKT_S5_S5_lliS5_S8_lS5_PKlPNS_14AccumulateTypeIS6_Lb1EE4typeEl,comdat
.Lfunc_end105:
	.size	_ZN2at6native12_GLOBAL__N_124compute_grad_weight_bagsIflEEvPKT0_PKT_S5_S5_lliS5_S8_lS5_PKlPNS_14AccumulateTypeIS6_Lb1EE4typeEl, .Lfunc_end105-_ZN2at6native12_GLOBAL__N_124compute_grad_weight_bagsIflEEvPKT0_PKT_S5_S5_lliS5_S8_lS5_PKlPNS_14AccumulateTypeIS6_Lb1EE4typeEl
                                        ; -- End function
	.section	.AMDGPU.csdata,"",@progbits
; Kernel info:
; codeLenInByte = 1836
; NumSgprs: 36
; NumVgprs: 30
; NumAgprs: 0
; TotalNumVgprs: 30
; ScratchSize: 0
; MemoryBound: 0
; FloatMode: 240
; IeeeMode: 1
; LDSByteSize: 0 bytes/workgroup (compile time only)
; SGPRBlocks: 4
; VGPRBlocks: 3
; NumSGPRsForWavesPerEU: 36
; NumVGPRsForWavesPerEU: 30
; AccumOffset: 32
; Occupancy: 8
; WaveLimiterHint : 1
; COMPUTE_PGM_RSRC2:SCRATCH_EN: 0
; COMPUTE_PGM_RSRC2:USER_SGPR: 6
; COMPUTE_PGM_RSRC2:TRAP_HANDLER: 0
; COMPUTE_PGM_RSRC2:TGID_X_EN: 1
; COMPUTE_PGM_RSRC2:TGID_Y_EN: 0
; COMPUTE_PGM_RSRC2:TGID_Z_EN: 0
; COMPUTE_PGM_RSRC2:TIDIG_COMP_CNT: 0
; COMPUTE_PGM_RSRC3_GFX90A:ACCUM_OFFSET: 7
; COMPUTE_PGM_RSRC3_GFX90A:TG_SPLIT: 0
	.section	.text._ZN2at6native12_GLOBAL__N_119compute_grad_weightIflEEvPKT0_PKT_S5_llS5_PKlPNS_14AccumulateTypeIS6_Lb1EE4typeEl,"axG",@progbits,_ZN2at6native12_GLOBAL__N_119compute_grad_weightIflEEvPKT0_PKT_S5_llS5_PKlPNS_14AccumulateTypeIS6_Lb1EE4typeEl,comdat
	.globl	_ZN2at6native12_GLOBAL__N_119compute_grad_weightIflEEvPKT0_PKT_S5_llS5_PKlPNS_14AccumulateTypeIS6_Lb1EE4typeEl ; -- Begin function _ZN2at6native12_GLOBAL__N_119compute_grad_weightIflEEvPKT0_PKT_S5_llS5_PKlPNS_14AccumulateTypeIS6_Lb1EE4typeEl
	.p2align	8
	.type	_ZN2at6native12_GLOBAL__N_119compute_grad_weightIflEEvPKT0_PKT_S5_llS5_PKlPNS_14AccumulateTypeIS6_Lb1EE4typeEl,@function
_ZN2at6native12_GLOBAL__N_119compute_grad_weightIflEEvPKT0_PKT_S5_llS5_PKlPNS_14AccumulateTypeIS6_Lb1EE4typeEl: ; @_ZN2at6native12_GLOBAL__N_119compute_grad_weightIflEEvPKT0_PKT_S5_llS5_PKlPNS_14AccumulateTypeIS6_Lb1EE4typeEl
; %bb.0:
	s_load_dword s0, s[4:5], 0x54
	s_load_dwordx2 s[2:3], s[4:5], 0x40
	s_load_dwordx16 s[8:23], s[4:5], 0x0
	v_mov_b32_e32 v1, 0
	v_mov_b32_e32 v2, s6
	s_waitcnt lgkmcnt(0)
	s_and_b32 s0, s0, 0xffff
	v_mad_u64_u32 v[2:3], s[0:1], s0, v2, v[0:1]
	v_or_b32_e32 v5, s3, v3
	v_mov_b32_e32 v4, v1
	v_cmp_ne_u64_e32 vcc, 0, v[4:5]
                                        ; implicit-def: $vgpr0_vgpr1
	s_and_saveexec_b64 s[0:1], vcc
	s_xor_b64 s[4:5], exec, s[0:1]
	s_cbranch_execz .LBB106_2
; %bb.1:
	s_ashr_i32 s6, s3, 31
	s_add_u32 s0, s2, s6
	s_mov_b32 s7, s6
	s_addc_u32 s1, s3, s6
	s_xor_b64 s[24:25], s[0:1], s[6:7]
	v_cvt_f32_u32_e32 v0, s24
	v_cvt_f32_u32_e32 v1, s25
	s_sub_u32 s0, 0, s24
	s_subb_u32 s1, 0, s25
	v_madmk_f32 v0, v1, 0x4f800000, v0
	v_rcp_f32_e32 v0, v0
	v_mul_f32_e32 v0, 0x5f7ffffc, v0
	v_mul_f32_e32 v1, 0x2f800000, v0
	v_trunc_f32_e32 v1, v1
	v_madmk_f32 v0, v1, 0xcf800000, v0
	v_cvt_u32_f32_e32 v1, v1
	v_cvt_u32_f32_e32 v0, v0
	v_mul_lo_u32 v4, s0, v1
	v_mul_hi_u32 v6, s0, v0
	v_mul_lo_u32 v5, s1, v0
	v_add_u32_e32 v4, v6, v4
	v_mul_lo_u32 v7, s0, v0
	v_add_u32_e32 v4, v4, v5
	v_mul_lo_u32 v6, v0, v4
	v_mul_hi_u32 v8, v0, v7
	v_mul_hi_u32 v5, v0, v4
	v_add_co_u32_e32 v6, vcc, v8, v6
	v_addc_co_u32_e32 v5, vcc, 0, v5, vcc
	v_mul_hi_u32 v9, v1, v7
	v_mul_lo_u32 v7, v1, v7
	v_add_co_u32_e32 v6, vcc, v6, v7
	v_mul_hi_u32 v8, v1, v4
	v_addc_co_u32_e32 v5, vcc, v5, v9, vcc
	v_addc_co_u32_e32 v6, vcc, 0, v8, vcc
	v_mul_lo_u32 v4, v1, v4
	v_add_co_u32_e32 v4, vcc, v5, v4
	v_addc_co_u32_e32 v5, vcc, 0, v6, vcc
	v_add_co_u32_e32 v0, vcc, v0, v4
	v_addc_co_u32_e32 v1, vcc, v1, v5, vcc
	v_mul_lo_u32 v4, s0, v1
	v_mul_hi_u32 v5, s0, v0
	v_add_u32_e32 v4, v5, v4
	v_mul_lo_u32 v5, s1, v0
	v_add_u32_e32 v4, v4, v5
	v_mul_lo_u32 v6, s0, v0
	v_mul_hi_u32 v7, v1, v6
	v_mul_lo_u32 v8, v1, v6
	v_mul_lo_u32 v10, v0, v4
	v_mul_hi_u32 v6, v0, v6
	v_mul_hi_u32 v9, v0, v4
	v_add_co_u32_e32 v6, vcc, v6, v10
	v_addc_co_u32_e32 v9, vcc, 0, v9, vcc
	v_add_co_u32_e32 v6, vcc, v6, v8
	v_mul_hi_u32 v5, v1, v4
	v_addc_co_u32_e32 v6, vcc, v9, v7, vcc
	v_addc_co_u32_e32 v5, vcc, 0, v5, vcc
	v_mul_lo_u32 v4, v1, v4
	v_add_co_u32_e32 v4, vcc, v6, v4
	v_addc_co_u32_e32 v5, vcc, 0, v5, vcc
	v_add_co_u32_e32 v4, vcc, v0, v4
	v_addc_co_u32_e32 v5, vcc, v1, v5, vcc
	v_ashrrev_i32_e32 v6, 31, v3
	v_add_co_u32_e32 v0, vcc, v2, v6
	v_addc_co_u32_e32 v1, vcc, v3, v6, vcc
	v_xor_b32_e32 v8, v0, v6
	v_xor_b32_e32 v7, v1, v6
	v_mad_u64_u32 v[0:1], s[0:1], v8, v5, 0
	v_mul_hi_u32 v9, v8, v4
	v_add_co_u32_e32 v9, vcc, v9, v0
	v_addc_co_u32_e32 v10, vcc, 0, v1, vcc
	v_mad_u64_u32 v[0:1], s[0:1], v7, v5, 0
	v_mad_u64_u32 v[4:5], s[0:1], v7, v4, 0
	v_add_co_u32_e32 v4, vcc, v9, v4
	v_addc_co_u32_e32 v4, vcc, v10, v5, vcc
	v_addc_co_u32_e32 v1, vcc, 0, v1, vcc
	v_add_co_u32_e32 v4, vcc, v4, v0
	v_addc_co_u32_e32 v5, vcc, 0, v1, vcc
	v_mul_lo_u32 v9, s25, v4
	v_mul_lo_u32 v10, s24, v5
	v_mad_u64_u32 v[0:1], s[0:1], s24, v4, 0
	v_add3_u32 v1, v1, v10, v9
	v_sub_u32_e32 v9, v7, v1
	v_mov_b32_e32 v10, s25
	v_sub_co_u32_e32 v0, vcc, v8, v0
	v_subb_co_u32_e64 v8, s[0:1], v9, v10, vcc
	v_subrev_co_u32_e64 v9, s[0:1], s24, v0
	v_subbrev_co_u32_e64 v8, s[0:1], 0, v8, s[0:1]
	v_cmp_le_u32_e64 s[0:1], s25, v8
	v_cndmask_b32_e64 v10, 0, -1, s[0:1]
	v_cmp_le_u32_e64 s[0:1], s24, v9
	v_cndmask_b32_e64 v9, 0, -1, s[0:1]
	v_cmp_eq_u32_e64 s[0:1], s25, v8
	v_cndmask_b32_e64 v8, v10, v9, s[0:1]
	v_add_co_u32_e64 v9, s[0:1], 2, v4
	v_subb_co_u32_e32 v1, vcc, v7, v1, vcc
	v_addc_co_u32_e64 v10, s[0:1], 0, v5, s[0:1]
	v_cmp_le_u32_e32 vcc, s25, v1
	v_add_co_u32_e64 v11, s[0:1], 1, v4
	v_cndmask_b32_e64 v7, 0, -1, vcc
	v_cmp_le_u32_e32 vcc, s24, v0
	v_addc_co_u32_e64 v12, s[0:1], 0, v5, s[0:1]
	v_cndmask_b32_e64 v0, 0, -1, vcc
	v_cmp_eq_u32_e32 vcc, s25, v1
	v_cmp_ne_u32_e64 s[0:1], 0, v8
	v_cndmask_b32_e32 v0, v7, v0, vcc
	v_cndmask_b32_e64 v8, v12, v10, s[0:1]
	v_cmp_ne_u32_e32 vcc, 0, v0
	v_cndmask_b32_e64 v1, v11, v9, s[0:1]
	v_cndmask_b32_e32 v0, v5, v8, vcc
	v_cndmask_b32_e32 v1, v4, v1, vcc
	v_xor_b32_e32 v4, s6, v6
	v_xor_b32_e32 v5, v0, v4
	;; [unrolled: 1-line block ×3, first 2 shown]
	v_sub_co_u32_e32 v0, vcc, v0, v4
	v_subb_co_u32_e32 v1, vcc, v5, v4, vcc
.LBB106_2:
	s_or_saveexec_b64 s[0:1], s[4:5]
	s_load_dwordx2 s[4:5], s[20:21], 0x0
	s_xor_b64 exec, exec, s[0:1]
	s_cbranch_execz .LBB106_4
; %bb.3:
	v_cvt_f32_u32_e32 v0, s2
	s_sub_i32 s6, 0, s2
	v_rcp_iflag_f32_e32 v0, v0
	v_mul_f32_e32 v0, 0x4f7ffffe, v0
	v_cvt_u32_f32_e32 v0, v0
	v_mul_lo_u32 v1, s6, v0
	v_mul_hi_u32 v1, v0, v1
	v_add_u32_e32 v0, v0, v1
	v_mul_hi_u32 v0, v2, v0
	v_mul_lo_u32 v1, v0, s2
	v_sub_u32_e32 v1, v2, v1
	v_add_u32_e32 v4, 1, v0
	v_subrev_u32_e32 v5, s2, v1
	v_cmp_le_u32_e32 vcc, s2, v1
	v_cndmask_b32_e32 v1, v1, v5, vcc
	v_cndmask_b32_e32 v0, v0, v4, vcc
	v_add_u32_e32 v4, 1, v0
	v_cmp_le_u32_e32 vcc, s2, v1
	v_cndmask_b32_e32 v0, v0, v4, vcc
	v_mov_b32_e32 v1, 0
.LBB106_4:
	s_or_b64 exec, exec, s[0:1]
	v_mul_lo_u32 v6, v1, s2
	v_mul_lo_u32 v7, v0, s3
	v_mad_u64_u32 v[4:5], s[0:1], v0, s2, 0
	v_add3_u32 v5, v5, v7, v6
	v_sub_co_u32_e32 v4, vcc, v2, v4
	v_subb_co_u32_e32 v5, vcc, v3, v5, vcc
	v_cmp_gt_i64_e32 vcc, s[16:17], v[4:5]
	s_waitcnt lgkmcnt(0)
	v_cmp_gt_i64_e64 s[0:1], s[4:5], v[0:1]
	s_and_b64 s[0:1], vcc, s[0:1]
	s_and_saveexec_b64 s[2:3], s[0:1]
	s_cbranch_execz .LBB106_15
; %bb.5:
	v_lshlrev_b64 v[2:3], 3, v[0:1]
	v_mov_b32_e32 v6, s19
	v_add_co_u32_e32 v8, vcc, s18, v2
	v_addc_co_u32_e32 v9, vcc, v6, v3, vcc
	global_load_dwordx2 v[2:3], v[8:9], off
	s_add_u32 s0, s4, -1
	s_addc_u32 s1, s5, -1
	v_cmp_ne_u64_e32 vcc, s[0:1], v[0:1]
	v_pk_mov_b32 v[6:7], s[14:15], s[14:15] op_sel:[0,1]
	s_and_saveexec_b64 s[0:1], vcc
	s_cbranch_execz .LBB106_7
; %bb.6:
	global_load_dwordx2 v[6:7], v[8:9], off offset:8
.LBB106_7:
	s_or_b64 exec, exec, s[0:1]
	s_waitcnt vmcnt(0)
	v_cmp_lt_i32_e32 vcc, v2, v6
	v_mov_b32_e32 v3, 0
	v_lshlrev_b64 v[4:5], 2, v[4:5]
	s_and_saveexec_b64 s[2:3], vcc
	s_cbranch_execz .LBB106_14
; %bb.8:
	v_mov_b32_e32 v3, s11
	v_add_co_u32_e32 v7, vcc, s10, v4
	v_addc_co_u32_e32 v14, vcc, v3, v5, vcc
	v_ashrrev_i32_e32 v3, 31, v2
	v_lshlrev_b64 v[10:11], 3, v[2:3]
	s_cmp_lg_u64 s[12:13], 0
	v_mov_b32_e32 v3, s9
	v_add_co_u32_e32 v8, vcc, s8, v10
	v_addc_co_u32_e32 v9, vcc, v3, v11, vcc
	s_cselect_b64 s[0:1], -1, 0
	v_mov_b32_e32 v3, s13
	v_add_co_u32_e32 v10, vcc, s12, v10
	v_cndmask_b32_e64 v12, 0, 1, s[0:1]
	s_mov_b64 s[4:5], 0
	v_addc_co_u32_e32 v11, vcc, v3, v11, vcc
	v_mov_b32_e32 v3, 0
	v_cmp_ne_u32_e64 s[0:1], 1, v12
	s_branch .LBB106_11
.LBB106_9:                              ;   in Loop: Header=BB106_11 Depth=1
	global_load_dwordx2 v[16:17], v[10:11], off
	s_waitcnt vmcnt(0)
	v_xor_b32_e32 v18, v16, v17
	v_ffbh_i32_e32 v15, v17
	v_ashrrev_i32_e32 v18, 31, v18
	v_add_u32_e32 v15, -1, v15
	v_add_u32_e32 v18, 32, v18
	v_min_u32_e32 v15, v15, v18
	v_lshlrev_b64 v[16:17], v15, v[16:17]
	v_min_u32_e32 v16, 1, v16
	v_or_b32_e32 v16, v17, v16
	v_cvt_f32_i32_e32 v16, v16
	v_sub_u32_e32 v15, 32, v15
	v_ldexp_f32 v15, v16, v15
	v_div_scale_f32 v16, s[6:7], v15, v15, 1.0
	v_rcp_f32_e32 v17, v16
	v_div_scale_f32 v18, vcc, 1.0, v15, 1.0
	v_fma_f32 v19, -v16, v17, 1.0
	v_fmac_f32_e32 v17, v19, v17
	v_mul_f32_e32 v19, v18, v17
	v_fma_f32 v20, -v16, v19, v18
	v_fmac_f32_e32 v19, v20, v17
	v_fma_f32 v16, -v16, v19, v18
	v_div_fmas_f32 v16, v16, v17, v19
	v_div_fixup_f32 v15, v16, v15, 1.0
.LBB106_10:                             ;   in Loop: Header=BB106_11 Depth=1
	s_waitcnt vmcnt(0)
	v_mul_lo_u32 v16, v13, s16
	v_mul_lo_u32 v17, v12, s17
	v_mad_u64_u32 v[12:13], s[6:7], v12, s16, 0
	v_add3_u32 v13, v13, v17, v16
	v_lshlrev_b64 v[12:13], 2, v[12:13]
	v_add_co_u32_e32 v12, vcc, v7, v12
	v_addc_co_u32_e32 v13, vcc, v14, v13, vcc
	global_load_dword v12, v[12:13], off
	v_add_co_u32_e32 v8, vcc, 8, v8
	v_add_u32_e32 v2, 1, v2
	v_addc_co_u32_e32 v9, vcc, 0, v9, vcc
	v_cmp_ge_i32_e32 vcc, v2, v6
	s_or_b64 s[4:5], vcc, s[4:5]
	v_add_co_u32_e32 v10, vcc, 8, v10
	v_addc_co_u32_e32 v11, vcc, 0, v11, vcc
	s_waitcnt vmcnt(0)
	v_fmac_f32_e32 v3, v15, v12
	s_andn2_b64 exec, exec, s[4:5]
	s_cbranch_execz .LBB106_13
.LBB106_11:                             ; =>This Inner Loop Header: Depth=1
	global_load_dwordx2 v[12:13], v[8:9], off
	s_and_b64 vcc, exec, s[0:1]
	s_cbranch_vccz .LBB106_9
; %bb.12:                               ;   in Loop: Header=BB106_11 Depth=1
	v_mov_b32_e32 v15, 1.0
	s_branch .LBB106_10
.LBB106_13:
	s_or_b64 exec, exec, s[4:5]
.LBB106_14:
	s_or_b64 exec, exec, s[2:3]
	v_mul_lo_u32 v2, v1, s16
	v_mul_lo_u32 v6, v0, s17
	v_mad_u64_u32 v[0:1], s[0:1], v0, s16, 0
	v_add3_u32 v1, v1, v6, v2
	v_lshlrev_b64 v[0:1], 2, v[0:1]
	v_mov_b32_e32 v2, s23
	v_add_co_u32_e32 v0, vcc, s22, v0
	v_addc_co_u32_e32 v1, vcc, v2, v1, vcc
	v_add_co_u32_e32 v0, vcc, v0, v4
	v_addc_co_u32_e32 v1, vcc, v1, v5, vcc
	global_store_dword v[0:1], v3, off
.LBB106_15:
	s_endpgm
	.section	.rodata,"a",@progbits
	.p2align	6, 0x0
	.amdhsa_kernel _ZN2at6native12_GLOBAL__N_119compute_grad_weightIflEEvPKT0_PKT_S5_llS5_PKlPNS_14AccumulateTypeIS6_Lb1EE4typeEl
		.amdhsa_group_segment_fixed_size 0
		.amdhsa_private_segment_fixed_size 0
		.amdhsa_kernarg_size 328
		.amdhsa_user_sgpr_count 6
		.amdhsa_user_sgpr_private_segment_buffer 1
		.amdhsa_user_sgpr_dispatch_ptr 0
		.amdhsa_user_sgpr_queue_ptr 0
		.amdhsa_user_sgpr_kernarg_segment_ptr 1
		.amdhsa_user_sgpr_dispatch_id 0
		.amdhsa_user_sgpr_flat_scratch_init 0
		.amdhsa_user_sgpr_kernarg_preload_length 0
		.amdhsa_user_sgpr_kernarg_preload_offset 0
		.amdhsa_user_sgpr_private_segment_size 0
		.amdhsa_uses_dynamic_stack 0
		.amdhsa_system_sgpr_private_segment_wavefront_offset 0
		.amdhsa_system_sgpr_workgroup_id_x 1
		.amdhsa_system_sgpr_workgroup_id_y 0
		.amdhsa_system_sgpr_workgroup_id_z 0
		.amdhsa_system_sgpr_workgroup_info 0
		.amdhsa_system_vgpr_workitem_id 0
		.amdhsa_next_free_vgpr 21
		.amdhsa_next_free_sgpr 26
		.amdhsa_accum_offset 24
		.amdhsa_reserve_vcc 1
		.amdhsa_reserve_flat_scratch 0
		.amdhsa_float_round_mode_32 0
		.amdhsa_float_round_mode_16_64 0
		.amdhsa_float_denorm_mode_32 3
		.amdhsa_float_denorm_mode_16_64 3
		.amdhsa_dx10_clamp 1
		.amdhsa_ieee_mode 1
		.amdhsa_fp16_overflow 0
		.amdhsa_tg_split 0
		.amdhsa_exception_fp_ieee_invalid_op 0
		.amdhsa_exception_fp_denorm_src 0
		.amdhsa_exception_fp_ieee_div_zero 0
		.amdhsa_exception_fp_ieee_overflow 0
		.amdhsa_exception_fp_ieee_underflow 0
		.amdhsa_exception_fp_ieee_inexact 0
		.amdhsa_exception_int_div_zero 0
	.end_amdhsa_kernel
	.section	.text._ZN2at6native12_GLOBAL__N_119compute_grad_weightIflEEvPKT0_PKT_S5_llS5_PKlPNS_14AccumulateTypeIS6_Lb1EE4typeEl,"axG",@progbits,_ZN2at6native12_GLOBAL__N_119compute_grad_weightIflEEvPKT0_PKT_S5_llS5_PKlPNS_14AccumulateTypeIS6_Lb1EE4typeEl,comdat
.Lfunc_end106:
	.size	_ZN2at6native12_GLOBAL__N_119compute_grad_weightIflEEvPKT0_PKT_S5_llS5_PKlPNS_14AccumulateTypeIS6_Lb1EE4typeEl, .Lfunc_end106-_ZN2at6native12_GLOBAL__N_119compute_grad_weightIflEEvPKT0_PKT_S5_llS5_PKlPNS_14AccumulateTypeIS6_Lb1EE4typeEl
                                        ; -- End function
	.section	.AMDGPU.csdata,"",@progbits
; Kernel info:
; codeLenInByte = 1472
; NumSgprs: 30
; NumVgprs: 21
; NumAgprs: 0
; TotalNumVgprs: 21
; ScratchSize: 0
; MemoryBound: 0
; FloatMode: 240
; IeeeMode: 1
; LDSByteSize: 0 bytes/workgroup (compile time only)
; SGPRBlocks: 3
; VGPRBlocks: 2
; NumSGPRsForWavesPerEU: 30
; NumVGPRsForWavesPerEU: 21
; AccumOffset: 24
; Occupancy: 8
; WaveLimiterHint : 1
; COMPUTE_PGM_RSRC2:SCRATCH_EN: 0
; COMPUTE_PGM_RSRC2:USER_SGPR: 6
; COMPUTE_PGM_RSRC2:TRAP_HANDLER: 0
; COMPUTE_PGM_RSRC2:TGID_X_EN: 1
; COMPUTE_PGM_RSRC2:TGID_Y_EN: 0
; COMPUTE_PGM_RSRC2:TGID_Z_EN: 0
; COMPUTE_PGM_RSRC2:TIDIG_COMP_CNT: 0
; COMPUTE_PGM_RSRC3_GFX90A:ACCUM_OFFSET: 5
; COMPUTE_PGM_RSRC3_GFX90A:TG_SPLIT: 0
	.section	.text._ZN2at6native12_GLOBAL__N_115sum_and_scatterIflEEvPKT0_PT_lS5_PKlPKNS_14AccumulateTypeIS6_Lb1EE4typeES5_S9_ll,"axG",@progbits,_ZN2at6native12_GLOBAL__N_115sum_and_scatterIflEEvPKT0_PT_lS5_PKlPKNS_14AccumulateTypeIS6_Lb1EE4typeES5_S9_ll,comdat
	.globl	_ZN2at6native12_GLOBAL__N_115sum_and_scatterIflEEvPKT0_PT_lS5_PKlPKNS_14AccumulateTypeIS6_Lb1EE4typeES5_S9_ll ; -- Begin function _ZN2at6native12_GLOBAL__N_115sum_and_scatterIflEEvPKT0_PT_lS5_PKlPKNS_14AccumulateTypeIS6_Lb1EE4typeES5_S9_ll
	.p2align	8
	.type	_ZN2at6native12_GLOBAL__N_115sum_and_scatterIflEEvPKT0_PT_lS5_PKlPKNS_14AccumulateTypeIS6_Lb1EE4typeES5_S9_ll,@function
_ZN2at6native12_GLOBAL__N_115sum_and_scatterIflEEvPKT0_PT_lS5_PKlPKNS_14AccumulateTypeIS6_Lb1EE4typeES5_S9_ll: ; @_ZN2at6native12_GLOBAL__N_115sum_and_scatterIflEEvPKT0_PT_lS5_PKlPKNS_14AccumulateTypeIS6_Lb1EE4typeES5_S9_ll
; %bb.0:
	s_load_dword s0, s[4:5], 0x5c
	s_load_dwordx4 s[24:27], s[4:5], 0x40
	s_load_dwordx16 s[8:23], s[4:5], 0x0
	v_mov_b32_e32 v1, 0
	v_mov_b32_e32 v2, s6
	s_waitcnt lgkmcnt(0)
	s_and_b32 s0, s0, 0xffff
	v_mad_u64_u32 v[2:3], s[0:1], s0, v2, v[0:1]
	v_or_b32_e32 v5, s27, v3
	v_mov_b32_e32 v4, v1
	v_cmp_ne_u64_e32 vcc, 0, v[4:5]
                                        ; implicit-def: $vgpr6_vgpr7
	s_and_saveexec_b64 s[0:1], vcc
	s_xor_b64 s[2:3], exec, s[0:1]
	s_cbranch_execz .LBB107_2
; %bb.1:
	s_ashr_i32 s4, s27, 31
	s_add_u32 s0, s26, s4
	s_mov_b32 s5, s4
	s_addc_u32 s1, s27, s4
	s_xor_b64 s[6:7], s[0:1], s[4:5]
	v_cvt_f32_u32_e32 v0, s6
	v_cvt_f32_u32_e32 v1, s7
	s_sub_u32 s0, 0, s6
	s_subb_u32 s1, 0, s7
	v_madmk_f32 v0, v1, 0x4f800000, v0
	v_rcp_f32_e32 v0, v0
	v_mul_f32_e32 v0, 0x5f7ffffc, v0
	v_mul_f32_e32 v1, 0x2f800000, v0
	v_trunc_f32_e32 v1, v1
	v_madmk_f32 v0, v1, 0xcf800000, v0
	v_cvt_u32_f32_e32 v1, v1
	v_cvt_u32_f32_e32 v0, v0
	v_mul_lo_u32 v4, s0, v1
	v_mul_hi_u32 v6, s0, v0
	v_mul_lo_u32 v5, s1, v0
	v_add_u32_e32 v4, v6, v4
	v_mul_lo_u32 v7, s0, v0
	v_add_u32_e32 v4, v4, v5
	v_mul_lo_u32 v6, v0, v4
	v_mul_hi_u32 v8, v0, v7
	v_mul_hi_u32 v5, v0, v4
	v_add_co_u32_e32 v6, vcc, v8, v6
	v_addc_co_u32_e32 v5, vcc, 0, v5, vcc
	v_mul_hi_u32 v9, v1, v7
	v_mul_lo_u32 v7, v1, v7
	v_add_co_u32_e32 v6, vcc, v6, v7
	v_mul_hi_u32 v8, v1, v4
	v_addc_co_u32_e32 v5, vcc, v5, v9, vcc
	v_addc_co_u32_e32 v6, vcc, 0, v8, vcc
	v_mul_lo_u32 v4, v1, v4
	v_add_co_u32_e32 v4, vcc, v5, v4
	v_addc_co_u32_e32 v5, vcc, 0, v6, vcc
	v_add_co_u32_e32 v0, vcc, v0, v4
	v_addc_co_u32_e32 v1, vcc, v1, v5, vcc
	v_mul_lo_u32 v4, s0, v1
	v_mul_hi_u32 v5, s0, v0
	v_add_u32_e32 v4, v5, v4
	v_mul_lo_u32 v5, s1, v0
	v_add_u32_e32 v4, v4, v5
	v_mul_lo_u32 v6, s0, v0
	v_mul_hi_u32 v7, v1, v6
	v_mul_lo_u32 v8, v1, v6
	v_mul_lo_u32 v10, v0, v4
	v_mul_hi_u32 v6, v0, v6
	v_mul_hi_u32 v9, v0, v4
	v_add_co_u32_e32 v6, vcc, v6, v10
	v_addc_co_u32_e32 v9, vcc, 0, v9, vcc
	v_add_co_u32_e32 v6, vcc, v6, v8
	v_mul_hi_u32 v5, v1, v4
	v_addc_co_u32_e32 v6, vcc, v9, v7, vcc
	v_addc_co_u32_e32 v5, vcc, 0, v5, vcc
	v_mul_lo_u32 v4, v1, v4
	v_add_co_u32_e32 v4, vcc, v6, v4
	v_addc_co_u32_e32 v5, vcc, 0, v5, vcc
	v_add_co_u32_e32 v4, vcc, v0, v4
	v_addc_co_u32_e32 v5, vcc, v1, v5, vcc
	v_ashrrev_i32_e32 v6, 31, v3
	v_add_co_u32_e32 v0, vcc, v2, v6
	v_addc_co_u32_e32 v1, vcc, v3, v6, vcc
	v_xor_b32_e32 v8, v0, v6
	v_xor_b32_e32 v7, v1, v6
	v_mad_u64_u32 v[0:1], s[0:1], v8, v5, 0
	v_mul_hi_u32 v9, v8, v4
	v_add_co_u32_e32 v9, vcc, v9, v0
	v_addc_co_u32_e32 v10, vcc, 0, v1, vcc
	v_mad_u64_u32 v[0:1], s[0:1], v7, v5, 0
	v_mad_u64_u32 v[4:5], s[0:1], v7, v4, 0
	v_add_co_u32_e32 v4, vcc, v9, v4
	v_addc_co_u32_e32 v4, vcc, v10, v5, vcc
	v_addc_co_u32_e32 v1, vcc, 0, v1, vcc
	v_add_co_u32_e32 v4, vcc, v4, v0
	v_addc_co_u32_e32 v5, vcc, 0, v1, vcc
	v_mul_lo_u32 v9, s7, v4
	v_mul_lo_u32 v10, s6, v5
	v_mad_u64_u32 v[0:1], s[0:1], s6, v4, 0
	v_add3_u32 v1, v1, v10, v9
	v_sub_u32_e32 v9, v7, v1
	v_mov_b32_e32 v10, s7
	v_sub_co_u32_e32 v0, vcc, v8, v0
	v_subb_co_u32_e64 v8, s[0:1], v9, v10, vcc
	v_subrev_co_u32_e64 v9, s[0:1], s6, v0
	v_subbrev_co_u32_e64 v8, s[0:1], 0, v8, s[0:1]
	v_cmp_le_u32_e64 s[0:1], s7, v8
	v_cndmask_b32_e64 v10, 0, -1, s[0:1]
	v_cmp_le_u32_e64 s[0:1], s6, v9
	v_cndmask_b32_e64 v9, 0, -1, s[0:1]
	v_cmp_eq_u32_e64 s[0:1], s7, v8
	v_cndmask_b32_e64 v8, v10, v9, s[0:1]
	v_add_co_u32_e64 v9, s[0:1], 2, v4
	v_subb_co_u32_e32 v1, vcc, v7, v1, vcc
	v_addc_co_u32_e64 v10, s[0:1], 0, v5, s[0:1]
	v_cmp_le_u32_e32 vcc, s7, v1
	v_add_co_u32_e64 v11, s[0:1], 1, v4
	v_cndmask_b32_e64 v7, 0, -1, vcc
	v_cmp_le_u32_e32 vcc, s6, v0
	v_addc_co_u32_e64 v12, s[0:1], 0, v5, s[0:1]
	v_cndmask_b32_e64 v0, 0, -1, vcc
	v_cmp_eq_u32_e32 vcc, s7, v1
	v_cmp_ne_u32_e64 s[0:1], 0, v8
	v_cndmask_b32_e32 v0, v7, v0, vcc
	v_cmp_ne_u32_e32 vcc, 0, v0
	v_cndmask_b32_e64 v1, v11, v9, s[0:1]
	v_cndmask_b32_e64 v8, v12, v10, s[0:1]
	v_cndmask_b32_e32 v1, v4, v1, vcc
	v_xor_b32_e32 v4, s4, v6
	v_cndmask_b32_e32 v0, v5, v8, vcc
	v_xor_b32_e32 v1, v1, v4
	v_xor_b32_e32 v0, v0, v4
	v_sub_co_u32_e32 v6, vcc, v1, v4
	v_subb_co_u32_e32 v7, vcc, v0, v4, vcc
.LBB107_2:
	s_or_saveexec_b64 s[0:1], s[2:3]
	s_load_dwordx2 s[2:3], s[16:17], 0x0
	s_xor_b64 exec, exec, s[0:1]
	s_cbranch_execz .LBB107_4
; %bb.3:
	v_cvt_f32_u32_e32 v0, s26
	s_sub_i32 s4, 0, s26
	v_mov_b32_e32 v7, 0
	v_rcp_iflag_f32_e32 v0, v0
	v_mul_f32_e32 v0, 0x4f7ffffe, v0
	v_cvt_u32_f32_e32 v0, v0
	v_mul_lo_u32 v1, s4, v0
	v_mul_hi_u32 v1, v0, v1
	v_add_u32_e32 v0, v0, v1
	v_mul_hi_u32 v0, v2, v0
	v_mul_lo_u32 v1, v0, s26
	v_sub_u32_e32 v1, v2, v1
	v_add_u32_e32 v4, 1, v0
	v_subrev_u32_e32 v5, s26, v1
	v_cmp_le_u32_e32 vcc, s26, v1
	v_cndmask_b32_e32 v1, v1, v5, vcc
	v_cndmask_b32_e32 v0, v0, v4, vcc
	v_add_u32_e32 v4, 1, v0
	v_cmp_le_u32_e32 vcc, s26, v1
	v_cndmask_b32_e32 v6, v0, v4, vcc
.LBB107_4:
	s_or_b64 exec, exec, s[0:1]
	v_mul_lo_u32 v0, v7, s26
	v_mul_lo_u32 v1, v6, s27
	v_mad_u64_u32 v[8:9], s[0:1], v6, s26, 0
	v_add3_u32 v9, v9, v1, v0
	v_sub_co_u32_e32 v0, vcc, v2, v8
	v_subb_co_u32_e32 v1, vcc, v3, v9, vcc
	v_cmp_gt_i64_e32 vcc, s[12:13], v[0:1]
	s_waitcnt lgkmcnt(0)
	v_cmp_gt_i64_e64 s[0:1], s[2:3], v[6:7]
	s_and_b64 s[0:1], vcc, s[0:1]
	s_and_saveexec_b64 s[4:5], s[0:1]
	s_cbranch_execz .LBB107_11
; %bb.5:
	v_lshlrev_b64 v[4:5], 3, v[6:7]
	v_mov_b32_e32 v10, s21
	v_add_co_u32_e32 v12, vcc, s20, v4
	v_addc_co_u32_e32 v13, vcc, v10, v5, vcc
	s_add_u32 s0, s2, -1
	v_add_co_u32_e32 v11, vcc, 8, v12
	global_load_dword v10, v[12:13], off
	s_addc_u32 s1, s3, -1
	v_addc_co_u32_e32 v12, vcc, 0, v13, vcc
	v_mov_b32_e32 v13, s23
	v_cmp_eq_u64_e32 vcc, s[0:1], v[6:7]
	v_mov_b32_e32 v6, s22
	v_cndmask_b32_e32 v7, v12, v13, vcc
	v_cndmask_b32_e32 v6, v11, v6, vcc
	global_load_dword v7, v[6:7], off
	v_mov_b32_e32 v6, 0
	s_waitcnt vmcnt(0)
	v_cmp_lt_i32_e32 vcc, v10, v7
	s_and_saveexec_b64 s[0:1], vcc
	s_cbranch_execz .LBB107_9
; %bb.6:
	v_ashrrev_i32_e32 v6, 31, v10
	v_mul_lo_u32 v11, s13, v10
	v_mul_lo_u32 v6, s12, v6
	v_mad_u64_u32 v[12:13], s[2:3], s12, v10, 0
	v_add3_u32 v13, v13, v6, v11
	v_lshlrev_b64 v[12:13], 2, v[12:13]
	v_lshlrev_b64 v[2:3], 2, v[2:3]
	v_add_co_u32_e32 v6, vcc, v12, v2
	v_addc_co_u32_e32 v11, vcc, v13, v3, vcc
	v_lshlrev_b64 v[2:3], 2, v[8:9]
	v_sub_co_u32_e32 v2, vcc, v6, v2
	v_subb_co_u32_e32 v3, vcc, v11, v3, vcc
	v_mov_b32_e32 v6, s19
	v_add_co_u32_e32 v2, vcc, s18, v2
	s_lshl_b64 s[4:5], s[12:13], 2
	v_addc_co_u32_e32 v3, vcc, v6, v3, vcc
	s_mov_b64 s[2:3], 0
	v_mov_b32_e32 v6, 0
	v_mov_b32_e32 v8, s5
.LBB107_7:                              ; =>This Inner Loop Header: Depth=1
	global_load_dword v9, v[2:3], off
	v_add_co_u32_e32 v2, vcc, s4, v2
	v_add_u32_e32 v10, 1, v10
	v_addc_co_u32_e32 v3, vcc, v3, v8, vcc
	v_cmp_ge_i32_e32 vcc, v10, v7
	s_or_b64 s[2:3], vcc, s[2:3]
	s_waitcnt vmcnt(0)
	v_add_f32_e32 v6, v6, v9
	s_andn2_b64 exec, exec, s[2:3]
	s_cbranch_execnz .LBB107_7
; %bb.8:
	s_or_b64 exec, exec, s[2:3]
.LBB107_9:
	s_or_b64 exec, exec, s[0:1]
	v_mov_b32_e32 v3, s15
	v_add_co_u32_e32 v2, vcc, s14, v4
	v_addc_co_u32_e32 v3, vcc, v3, v5, vcc
	global_load_dwordx2 v[2:3], v[2:3], off
	v_mov_b32_e32 v4, s9
	s_waitcnt vmcnt(0)
	v_lshlrev_b64 v[2:3], 3, v[2:3]
	v_add_co_u32_e32 v2, vcc, s8, v2
	v_addc_co_u32_e32 v3, vcc, v4, v3, vcc
	global_load_dwordx2 v[2:3], v[2:3], off
	s_waitcnt vmcnt(0)
	v_cmp_ne_u64_e32 vcc, s[24:25], v[2:3]
	s_and_b64 exec, exec, vcc
	s_cbranch_execz .LBB107_11
; %bb.10:
	v_mul_lo_u32 v4, v3, s12
	v_mul_lo_u32 v5, v2, s13
	v_mad_u64_u32 v[2:3], s[0:1], v2, s12, 0
	v_add3_u32 v3, v3, v5, v4
	v_lshlrev_b64 v[2:3], 2, v[2:3]
	v_mov_b32_e32 v4, s11
	v_add_co_u32_e32 v2, vcc, s10, v2
	v_addc_co_u32_e32 v3, vcc, v4, v3, vcc
	v_lshlrev_b64 v[0:1], 2, v[0:1]
	v_add_co_u32_e32 v0, vcc, v2, v0
	v_addc_co_u32_e32 v1, vcc, v3, v1, vcc
	global_store_dword v[0:1], v6, off
.LBB107_11:
	s_endpgm
	.section	.rodata,"a",@progbits
	.p2align	6, 0x0
	.amdhsa_kernel _ZN2at6native12_GLOBAL__N_115sum_and_scatterIflEEvPKT0_PT_lS5_PKlPKNS_14AccumulateTypeIS6_Lb1EE4typeES5_S9_ll
		.amdhsa_group_segment_fixed_size 0
		.amdhsa_private_segment_fixed_size 0
		.amdhsa_kernarg_size 336
		.amdhsa_user_sgpr_count 6
		.amdhsa_user_sgpr_private_segment_buffer 1
		.amdhsa_user_sgpr_dispatch_ptr 0
		.amdhsa_user_sgpr_queue_ptr 0
		.amdhsa_user_sgpr_kernarg_segment_ptr 1
		.amdhsa_user_sgpr_dispatch_id 0
		.amdhsa_user_sgpr_flat_scratch_init 0
		.amdhsa_user_sgpr_kernarg_preload_length 0
		.amdhsa_user_sgpr_kernarg_preload_offset 0
		.amdhsa_user_sgpr_private_segment_size 0
		.amdhsa_uses_dynamic_stack 0
		.amdhsa_system_sgpr_private_segment_wavefront_offset 0
		.amdhsa_system_sgpr_workgroup_id_x 1
		.amdhsa_system_sgpr_workgroup_id_y 0
		.amdhsa_system_sgpr_workgroup_id_z 0
		.amdhsa_system_sgpr_workgroup_info 0
		.amdhsa_system_vgpr_workitem_id 0
		.amdhsa_next_free_vgpr 14
		.amdhsa_next_free_sgpr 28
		.amdhsa_accum_offset 16
		.amdhsa_reserve_vcc 1
		.amdhsa_reserve_flat_scratch 0
		.amdhsa_float_round_mode_32 0
		.amdhsa_float_round_mode_16_64 0
		.amdhsa_float_denorm_mode_32 3
		.amdhsa_float_denorm_mode_16_64 3
		.amdhsa_dx10_clamp 1
		.amdhsa_ieee_mode 1
		.amdhsa_fp16_overflow 0
		.amdhsa_tg_split 0
		.amdhsa_exception_fp_ieee_invalid_op 0
		.amdhsa_exception_fp_denorm_src 0
		.amdhsa_exception_fp_ieee_div_zero 0
		.amdhsa_exception_fp_ieee_overflow 0
		.amdhsa_exception_fp_ieee_underflow 0
		.amdhsa_exception_fp_ieee_inexact 0
		.amdhsa_exception_int_div_zero 0
	.end_amdhsa_kernel
	.section	.text._ZN2at6native12_GLOBAL__N_115sum_and_scatterIflEEvPKT0_PT_lS5_PKlPKNS_14AccumulateTypeIS6_Lb1EE4typeES5_S9_ll,"axG",@progbits,_ZN2at6native12_GLOBAL__N_115sum_and_scatterIflEEvPKT0_PT_lS5_PKlPKNS_14AccumulateTypeIS6_Lb1EE4typeES5_S9_ll,comdat
.Lfunc_end107:
	.size	_ZN2at6native12_GLOBAL__N_115sum_and_scatterIflEEvPKT0_PT_lS5_PKlPKNS_14AccumulateTypeIS6_Lb1EE4typeES5_S9_ll, .Lfunc_end107-_ZN2at6native12_GLOBAL__N_115sum_and_scatterIflEEvPKT0_PT_lS5_PKlPKNS_14AccumulateTypeIS6_Lb1EE4typeES5_S9_ll
                                        ; -- End function
	.section	.AMDGPU.csdata,"",@progbits
; Kernel info:
; codeLenInByte = 1340
; NumSgprs: 32
; NumVgprs: 14
; NumAgprs: 0
; TotalNumVgprs: 14
; ScratchSize: 0
; MemoryBound: 0
; FloatMode: 240
; IeeeMode: 1
; LDSByteSize: 0 bytes/workgroup (compile time only)
; SGPRBlocks: 3
; VGPRBlocks: 1
; NumSGPRsForWavesPerEU: 32
; NumVGPRsForWavesPerEU: 14
; AccumOffset: 16
; Occupancy: 8
; WaveLimiterHint : 1
; COMPUTE_PGM_RSRC2:SCRATCH_EN: 0
; COMPUTE_PGM_RSRC2:USER_SGPR: 6
; COMPUTE_PGM_RSRC2:TRAP_HANDLER: 0
; COMPUTE_PGM_RSRC2:TGID_X_EN: 1
; COMPUTE_PGM_RSRC2:TGID_Y_EN: 0
; COMPUTE_PGM_RSRC2:TGID_Z_EN: 0
; COMPUTE_PGM_RSRC2:TIDIG_COMP_CNT: 0
; COMPUTE_PGM_RSRC3_GFX90A:ACCUM_OFFSET: 3
; COMPUTE_PGM_RSRC3_GFX90A:TG_SPLIT: 0
	.section	.text._ZN2at6native12_GLOBAL__N_137compute_grad_weight_atomic_accumulateIN3c104HalfEflEEvPKT1_PKT_S7_llS7_PKlS7_S7_S7_PT0_ll,"axG",@progbits,_ZN2at6native12_GLOBAL__N_137compute_grad_weight_atomic_accumulateIN3c104HalfEflEEvPKT1_PKT_S7_llS7_PKlS7_S7_S7_PT0_ll,comdat
	.globl	_ZN2at6native12_GLOBAL__N_137compute_grad_weight_atomic_accumulateIN3c104HalfEflEEvPKT1_PKT_S7_llS7_PKlS7_S7_S7_PT0_ll ; -- Begin function _ZN2at6native12_GLOBAL__N_137compute_grad_weight_atomic_accumulateIN3c104HalfEflEEvPKT1_PKT_S7_llS7_PKlS7_S7_S7_PT0_ll
	.p2align	8
	.type	_ZN2at6native12_GLOBAL__N_137compute_grad_weight_atomic_accumulateIN3c104HalfEflEEvPKT1_PKT_S7_llS7_PKlS7_S7_S7_PT0_ll,@function
_ZN2at6native12_GLOBAL__N_137compute_grad_weight_atomic_accumulateIN3c104HalfEflEEvPKT1_PKT_S7_llS7_PKlS7_S7_S7_PT0_ll: ; @_ZN2at6native12_GLOBAL__N_137compute_grad_weight_atomic_accumulateIN3c104HalfEflEEvPKT1_PKT_S7_llS7_PKlS7_S7_S7_PT0_ll
; %bb.0:
	s_load_dword s0, s[4:5], 0x74
	s_load_dwordx2 s[2:3], s[4:5], 0x60
	v_mov_b32_e32 v2, 0
                                        ; implicit-def: $vgpr8_vgpr9
	s_waitcnt lgkmcnt(0)
	s_and_b32 s0, s0, 0xffff
	s_mul_i32 s6, s6, s0
	v_add_u32_e32 v0, s6, v0
	v_ashrrev_i32_e32 v1, 31, v0
	v_or_b32_e32 v3, s3, v1
	v_cmp_ne_u64_e32 vcc, 0, v[2:3]
	s_and_saveexec_b64 s[0:1], vcc
	s_xor_b64 s[6:7], exec, s[0:1]
	s_cbranch_execz .LBB108_2
; %bb.1:
	s_ashr_i32 s8, s3, 31
	s_add_u32 s0, s2, s8
	s_mov_b32 s9, s8
	s_addc_u32 s1, s3, s8
	s_xor_b64 s[10:11], s[0:1], s[8:9]
	v_cvt_f32_u32_e32 v2, s10
	v_cvt_f32_u32_e32 v3, s11
	s_sub_u32 s0, 0, s10
	s_subb_u32 s1, 0, s11
	v_madmk_f32 v2, v3, 0x4f800000, v2
	v_rcp_f32_e32 v2, v2
	v_mul_f32_e32 v2, 0x5f7ffffc, v2
	v_mul_f32_e32 v3, 0x2f800000, v2
	v_trunc_f32_e32 v3, v3
	v_madmk_f32 v2, v3, 0xcf800000, v2
	v_cvt_u32_f32_e32 v3, v3
	v_cvt_u32_f32_e32 v2, v2
	v_mul_lo_u32 v4, s0, v3
	v_mul_hi_u32 v6, s0, v2
	v_mul_lo_u32 v5, s1, v2
	v_add_u32_e32 v4, v6, v4
	v_mul_lo_u32 v7, s0, v2
	v_add_u32_e32 v4, v4, v5
	v_mul_lo_u32 v6, v2, v4
	v_mul_hi_u32 v8, v2, v7
	v_mul_hi_u32 v5, v2, v4
	v_add_co_u32_e32 v6, vcc, v8, v6
	v_addc_co_u32_e32 v5, vcc, 0, v5, vcc
	v_mul_hi_u32 v9, v3, v7
	v_mul_lo_u32 v7, v3, v7
	v_add_co_u32_e32 v6, vcc, v6, v7
	v_mul_hi_u32 v8, v3, v4
	v_addc_co_u32_e32 v5, vcc, v5, v9, vcc
	v_addc_co_u32_e32 v6, vcc, 0, v8, vcc
	v_mul_lo_u32 v4, v3, v4
	v_add_co_u32_e32 v4, vcc, v5, v4
	v_addc_co_u32_e32 v5, vcc, 0, v6, vcc
	v_add_co_u32_e32 v2, vcc, v2, v4
	v_addc_co_u32_e32 v3, vcc, v3, v5, vcc
	v_mul_lo_u32 v4, s0, v3
	v_mul_hi_u32 v5, s0, v2
	v_add_u32_e32 v4, v5, v4
	v_mul_lo_u32 v5, s1, v2
	v_add_u32_e32 v4, v4, v5
	v_mul_lo_u32 v6, s0, v2
	v_mul_hi_u32 v7, v3, v6
	v_mul_lo_u32 v8, v3, v6
	v_mul_lo_u32 v10, v2, v4
	v_mul_hi_u32 v6, v2, v6
	v_mul_hi_u32 v9, v2, v4
	v_add_co_u32_e32 v6, vcc, v6, v10
	v_addc_co_u32_e32 v9, vcc, 0, v9, vcc
	v_add_co_u32_e32 v6, vcc, v6, v8
	v_mul_hi_u32 v5, v3, v4
	v_addc_co_u32_e32 v6, vcc, v9, v7, vcc
	v_addc_co_u32_e32 v5, vcc, 0, v5, vcc
	v_mul_lo_u32 v4, v3, v4
	v_add_co_u32_e32 v4, vcc, v6, v4
	v_addc_co_u32_e32 v5, vcc, 0, v5, vcc
	v_add_co_u32_e32 v6, vcc, v2, v4
	v_addc_co_u32_e32 v7, vcc, v3, v5, vcc
	v_mov_b32_e32 v2, v1
	v_mov_b32_e32 v3, v1
	v_add_co_u32_e32 v4, vcc, v0, v2
	v_addc_co_u32_e32 v5, vcc, v1, v3, vcc
	v_xor_b32_e32 v9, v4, v2
	v_xor_b32_e32 v8, v5, v3
	v_mad_u64_u32 v[4:5], s[0:1], v9, v7, 0
	v_mul_hi_u32 v10, v9, v6
	v_add_co_u32_e32 v10, vcc, v10, v4
	v_addc_co_u32_e32 v11, vcc, 0, v5, vcc
	v_mad_u64_u32 v[4:5], s[0:1], v8, v7, 0
	v_mad_u64_u32 v[6:7], s[0:1], v8, v6, 0
	v_add_co_u32_e32 v6, vcc, v10, v6
	v_addc_co_u32_e32 v6, vcc, v11, v7, vcc
	v_addc_co_u32_e32 v5, vcc, 0, v5, vcc
	v_add_co_u32_e32 v6, vcc, v6, v4
	v_addc_co_u32_e32 v7, vcc, 0, v5, vcc
	v_mul_lo_u32 v10, s11, v6
	v_mul_lo_u32 v11, s10, v7
	v_mad_u64_u32 v[4:5], s[0:1], s10, v6, 0
	v_add3_u32 v5, v5, v11, v10
	v_sub_u32_e32 v10, v8, v5
	v_mov_b32_e32 v11, s11
	v_sub_co_u32_e32 v4, vcc, v9, v4
	v_subb_co_u32_e64 v9, s[0:1], v10, v11, vcc
	v_subrev_co_u32_e64 v10, s[0:1], s10, v4
	v_subbrev_co_u32_e64 v9, s[0:1], 0, v9, s[0:1]
	v_cmp_le_u32_e64 s[0:1], s11, v9
	v_cndmask_b32_e64 v11, 0, -1, s[0:1]
	v_cmp_le_u32_e64 s[0:1], s10, v10
	v_cndmask_b32_e64 v10, 0, -1, s[0:1]
	v_cmp_eq_u32_e64 s[0:1], s11, v9
	v_cndmask_b32_e64 v9, v11, v10, s[0:1]
	v_add_co_u32_e64 v10, s[0:1], 2, v6
	v_subb_co_u32_e32 v5, vcc, v8, v5, vcc
	v_addc_co_u32_e64 v11, s[0:1], 0, v7, s[0:1]
	v_cmp_le_u32_e32 vcc, s11, v5
	v_add_co_u32_e64 v12, s[0:1], 1, v6
	v_cndmask_b32_e64 v8, 0, -1, vcc
	v_cmp_le_u32_e32 vcc, s10, v4
	v_addc_co_u32_e64 v13, s[0:1], 0, v7, s[0:1]
	v_cndmask_b32_e64 v4, 0, -1, vcc
	v_cmp_eq_u32_e32 vcc, s11, v5
	v_cmp_ne_u32_e64 s[0:1], 0, v9
	v_cndmask_b32_e32 v4, v8, v4, vcc
	v_cmp_ne_u32_e32 vcc, 0, v4
	v_cndmask_b32_e64 v5, v12, v10, s[0:1]
	v_cndmask_b32_e64 v9, v13, v11, s[0:1]
	v_cndmask_b32_e32 v5, v6, v5, vcc
	v_xor_b32_e32 v2, s8, v2
	v_cndmask_b32_e32 v4, v7, v9, vcc
	v_xor_b32_e32 v3, s8, v3
	v_xor_b32_e32 v5, v5, v2
	v_xor_b32_e32 v4, v4, v3
	v_sub_co_u32_e32 v8, vcc, v5, v2
	v_subb_co_u32_e32 v9, vcc, v4, v3, vcc
.LBB108_2:
	s_or_saveexec_b64 s[0:1], s[6:7]
	s_load_dwordx16 s[8:23], s[4:5], 0x0
	s_xor_b64 exec, exec, s[0:1]
	s_cbranch_execz .LBB108_4
; %bb.3:
	v_cvt_f32_u32_e32 v2, s2
	s_sub_i32 s6, 0, s2
	v_mov_b32_e32 v9, 0
	v_rcp_iflag_f32_e32 v2, v2
	v_mul_f32_e32 v2, 0x4f7ffffe, v2
	v_cvt_u32_f32_e32 v2, v2
	v_mul_lo_u32 v3, s6, v2
	v_mul_hi_u32 v3, v2, v3
	v_add_u32_e32 v2, v2, v3
	v_mul_hi_u32 v2, v0, v2
	v_mul_lo_u32 v3, v2, s2
	v_sub_u32_e32 v3, v0, v3
	v_add_u32_e32 v4, 1, v2
	v_subrev_u32_e32 v5, s2, v3
	v_cmp_le_u32_e32 vcc, s2, v3
	v_cndmask_b32_e32 v3, v3, v5, vcc
	v_cndmask_b32_e32 v2, v2, v4, vcc
	v_add_u32_e32 v4, 1, v2
	v_cmp_le_u32_e32 vcc, s2, v3
	v_cndmask_b32_e32 v8, v2, v4, vcc
.LBB108_4:
	s_or_b64 exec, exec, s[0:1]
	v_mul_lo_u32 v4, v9, s2
	v_mul_lo_u32 v5, v8, s3
	v_mad_u64_u32 v[2:3], s[0:1], v8, s2, 0
	v_add3_u32 v3, v3, v5, v4
	v_sub_co_u32_e32 v0, vcc, v0, v2
	v_subb_co_u32_e32 v1, vcc, v1, v3, vcc
	s_waitcnt lgkmcnt(0)
	v_cmp_gt_i64_e32 vcc, s[16:17], v[0:1]
	s_and_saveexec_b64 s[0:1], vcc
	s_cbranch_execz .LBB108_17
; %bb.5:
	s_load_dwordx2 s[0:1], s[20:21], 0x0
	v_ashrrev_i32_e32 v9, 31, v8
	s_waitcnt lgkmcnt(0)
	v_cmp_gt_i64_e32 vcc, s[0:1], v[8:9]
	s_and_b64 exec, exec, vcc
	s_cbranch_execz .LBB108_17
; %bb.6:
	v_lshlrev_b64 v[2:3], 3, v[8:9]
	v_mov_b32_e32 v5, s19
	v_add_co_u32_e32 v4, vcc, s18, v2
	v_addc_co_u32_e32 v5, vcc, v5, v3, vcc
	global_load_dwordx2 v[4:5], v[4:5], off
	s_load_dwordx8 s[24:31], s[4:5], 0x40
	s_add_u32 s0, s0, -1
	s_addc_u32 s1, s1, -1
	v_cmp_ne_u64_e32 vcc, s[0:1], v[8:9]
	v_pk_mov_b32 v[6:7], s[14:15], s[14:15] op_sel:[0,1]
	s_and_saveexec_b64 s[0:1], vcc
	s_cbranch_execz .LBB108_8
; %bb.7:
	v_mov_b32_e32 v7, v8
	v_add_co_u32_e64 v6, vcc, 0, 0
	v_addc_co_u32_e32 v7, vcc, 1, v7, vcc
	v_ashrrev_i64 v[6:7], 29, v[6:7]
	v_mov_b32_e32 v8, s19
	v_add_co_u32_e32 v6, vcc, s18, v6
	v_addc_co_u32_e32 v7, vcc, v8, v7, vcc
	global_load_dwordx2 v[6:7], v[6:7], off
.LBB108_8:
	s_or_b64 exec, exec, s[0:1]
	s_waitcnt vmcnt(0)
	v_cmp_lt_i64_e32 vcc, v[4:5], v[6:7]
	v_mov_b32_e32 v14, 0
	s_and_saveexec_b64 s[2:3], vcc
	s_cbranch_execz .LBB108_15
; %bb.9:
	v_lshlrev_b64 v[8:9], 1, v[0:1]
	v_mov_b32_e32 v10, s11
	v_add_co_u32_e32 v15, vcc, s10, v8
	v_addc_co_u32_e32 v16, vcc, v10, v9, vcc
	v_lshlrev_b64 v[10:11], 3, v[4:5]
	v_mov_b32_e32 v9, s13
	v_add_co_u32_e32 v8, vcc, s12, v10
	s_cmp_lg_u64 s[12:13], 0
	v_addc_co_u32_e32 v9, vcc, v9, v11, vcc
	v_mov_b32_e32 v12, s9
	v_add_co_u32_e32 v10, vcc, s8, v10
	s_cselect_b64 s[0:1], -1, 0
	v_addc_co_u32_e32 v11, vcc, v12, v11, vcc
	v_cndmask_b32_e64 v12, 0, 1, s[0:1]
	s_mov_b64 s[4:5], 0
	v_mov_b32_e32 v14, 0
	v_cmp_ne_u32_e64 s[0:1], 1, v12
	s_branch .LBB108_12
.LBB108_10:                             ;   in Loop: Header=BB108_12 Depth=1
	global_load_dwordx2 v[18:19], v[8:9], off
	s_waitcnt vmcnt(0)
	v_xor_b32_e32 v20, v18, v19
	v_ffbh_i32_e32 v17, v19
	v_ashrrev_i32_e32 v20, 31, v20
	v_add_u32_e32 v17, -1, v17
	v_add_u32_e32 v20, 32, v20
	v_min_u32_e32 v17, v17, v20
	v_lshlrev_b64 v[18:19], v17, v[18:19]
	v_min_u32_e32 v18, 1, v18
	v_or_b32_e32 v18, v19, v18
	v_cvt_f32_i32_e32 v18, v18
	v_sub_u32_e32 v17, 32, v17
	v_ldexp_f32 v17, v18, v17
	v_div_scale_f32 v18, s[6:7], v17, v17, 1.0
	v_rcp_f32_e32 v19, v18
	v_div_scale_f32 v20, vcc, 1.0, v17, 1.0
	v_fma_f32 v21, -v18, v19, 1.0
	v_fmac_f32_e32 v19, v21, v19
	v_mul_f32_e32 v21, v20, v19
	v_fma_f32 v22, -v18, v21, v20
	v_fmac_f32_e32 v21, v22, v19
	v_fma_f32 v18, -v18, v21, v20
	v_div_fmas_f32 v18, v18, v19, v21
	v_div_fixup_f32 v17, v18, v17, 1.0
.LBB108_11:                             ;   in Loop: Header=BB108_12 Depth=1
	s_waitcnt vmcnt(0)
	v_mul_lo_u32 v18, v13, s16
	v_mul_lo_u32 v19, v12, s17
	v_mad_u64_u32 v[12:13], s[6:7], v12, s16, 0
	v_add3_u32 v13, v13, v19, v18
	v_lshlrev_b64 v[12:13], 1, v[12:13]
	v_add_co_u32_e32 v12, vcc, v15, v12
	v_addc_co_u32_e32 v13, vcc, v16, v13, vcc
	global_load_ushort v12, v[12:13], off
	v_add_co_u32_e32 v4, vcc, 1, v4
	v_addc_co_u32_e32 v5, vcc, 0, v5, vcc
	v_add_co_u32_e32 v8, vcc, 8, v8
	v_addc_co_u32_e32 v9, vcc, 0, v9, vcc
	v_cmp_ge_i64_e32 vcc, v[4:5], v[6:7]
	s_or_b64 s[4:5], vcc, s[4:5]
	v_add_co_u32_e32 v10, vcc, 8, v10
	v_addc_co_u32_e32 v11, vcc, 0, v11, vcc
	s_waitcnt vmcnt(0)
	v_fma_mix_f32 v14, v17, v12, v14 op_sel_hi:[0,1,0]
	s_andn2_b64 exec, exec, s[4:5]
	s_cbranch_execz .LBB108_14
.LBB108_12:                             ; =>This Inner Loop Header: Depth=1
	global_load_dwordx2 v[12:13], v[10:11], off
	s_and_b64 vcc, exec, s[0:1]
	s_cbranch_vccz .LBB108_10
; %bb.13:                               ;   in Loop: Header=BB108_12 Depth=1
	v_mov_b32_e32 v17, 1.0
	s_branch .LBB108_11
.LBB108_14:
	s_or_b64 exec, exec, s[4:5]
.LBB108_15:
	s_or_b64 exec, exec, s[2:3]
	s_waitcnt lgkmcnt(0)
	v_mov_b32_e32 v4, s25
	v_add_co_u32_e32 v2, vcc, s24, v2
	v_addc_co_u32_e32 v3, vcc, v4, v3, vcc
	global_load_dwordx2 v[2:3], v[2:3], off
	v_mov_b32_e32 v4, s27
	s_waitcnt vmcnt(0)
	v_lshlrev_b64 v[2:3], 3, v[2:3]
	v_add_co_u32_e32 v2, vcc, s26, v2
	v_addc_co_u32_e32 v3, vcc, v4, v3, vcc
	global_load_dwordx2 v[2:3], v[2:3], off
	v_mov_b32_e32 v4, s23
	s_waitcnt vmcnt(0)
	v_lshlrev_b64 v[2:3], 3, v[2:3]
	v_add_co_u32_e32 v2, vcc, s22, v2
	v_addc_co_u32_e32 v3, vcc, v4, v3, vcc
	global_load_dwordx2 v[2:3], v[2:3], off
	s_waitcnt vmcnt(0)
	v_cmp_ne_u64_e32 vcc, s[30:31], v[2:3]
	s_and_b64 exec, exec, vcc
	s_cbranch_execz .LBB108_17
; %bb.16:
	v_mul_lo_u32 v4, v3, s16
	v_mul_lo_u32 v5, v2, s17
	v_mad_u64_u32 v[2:3], s[0:1], v2, s16, 0
	v_add3_u32 v3, v3, v5, v4
	v_lshlrev_b64 v[2:3], 2, v[2:3]
	v_mov_b32_e32 v4, s29
	v_add_co_u32_e32 v2, vcc, s28, v2
	v_addc_co_u32_e32 v3, vcc, v4, v3, vcc
	v_lshlrev_b64 v[0:1], 2, v[0:1]
	v_add_co_u32_e32 v0, vcc, v2, v0
	v_addc_co_u32_e32 v1, vcc, v3, v1, vcc
	global_atomic_add_f32 v[0:1], v14, off
.LBB108_17:
	s_endpgm
	.section	.rodata,"a",@progbits
	.p2align	6, 0x0
	.amdhsa_kernel _ZN2at6native12_GLOBAL__N_137compute_grad_weight_atomic_accumulateIN3c104HalfEflEEvPKT1_PKT_S7_llS7_PKlS7_S7_S7_PT0_ll
		.amdhsa_group_segment_fixed_size 0
		.amdhsa_private_segment_fixed_size 0
		.amdhsa_kernarg_size 360
		.amdhsa_user_sgpr_count 6
		.amdhsa_user_sgpr_private_segment_buffer 1
		.amdhsa_user_sgpr_dispatch_ptr 0
		.amdhsa_user_sgpr_queue_ptr 0
		.amdhsa_user_sgpr_kernarg_segment_ptr 1
		.amdhsa_user_sgpr_dispatch_id 0
		.amdhsa_user_sgpr_flat_scratch_init 0
		.amdhsa_user_sgpr_kernarg_preload_length 0
		.amdhsa_user_sgpr_kernarg_preload_offset 0
		.amdhsa_user_sgpr_private_segment_size 0
		.amdhsa_uses_dynamic_stack 0
		.amdhsa_system_sgpr_private_segment_wavefront_offset 0
		.amdhsa_system_sgpr_workgroup_id_x 1
		.amdhsa_system_sgpr_workgroup_id_y 0
		.amdhsa_system_sgpr_workgroup_id_z 0
		.amdhsa_system_sgpr_workgroup_info 0
		.amdhsa_system_vgpr_workitem_id 0
		.amdhsa_next_free_vgpr 23
		.amdhsa_next_free_sgpr 32
		.amdhsa_accum_offset 24
		.amdhsa_reserve_vcc 1
		.amdhsa_reserve_flat_scratch 0
		.amdhsa_float_round_mode_32 0
		.amdhsa_float_round_mode_16_64 0
		.amdhsa_float_denorm_mode_32 3
		.amdhsa_float_denorm_mode_16_64 3
		.amdhsa_dx10_clamp 1
		.amdhsa_ieee_mode 1
		.amdhsa_fp16_overflow 0
		.amdhsa_tg_split 0
		.amdhsa_exception_fp_ieee_invalid_op 0
		.amdhsa_exception_fp_denorm_src 0
		.amdhsa_exception_fp_ieee_div_zero 0
		.amdhsa_exception_fp_ieee_overflow 0
		.amdhsa_exception_fp_ieee_underflow 0
		.amdhsa_exception_fp_ieee_inexact 0
		.amdhsa_exception_int_div_zero 0
	.end_amdhsa_kernel
	.section	.text._ZN2at6native12_GLOBAL__N_137compute_grad_weight_atomic_accumulateIN3c104HalfEflEEvPKT1_PKT_S7_llS7_PKlS7_S7_S7_PT0_ll,"axG",@progbits,_ZN2at6native12_GLOBAL__N_137compute_grad_weight_atomic_accumulateIN3c104HalfEflEEvPKT1_PKT_S7_llS7_PKlS7_S7_S7_PT0_ll,comdat
.Lfunc_end108:
	.size	_ZN2at6native12_GLOBAL__N_137compute_grad_weight_atomic_accumulateIN3c104HalfEflEEvPKT1_PKT_S7_llS7_PKlS7_S7_S7_PT0_ll, .Lfunc_end108-_ZN2at6native12_GLOBAL__N_137compute_grad_weight_atomic_accumulateIN3c104HalfEflEEvPKT1_PKT_S7_llS7_PKlS7_S7_S7_PT0_ll
                                        ; -- End function
	.section	.AMDGPU.csdata,"",@progbits
; Kernel info:
; codeLenInByte = 1644
; NumSgprs: 36
; NumVgprs: 23
; NumAgprs: 0
; TotalNumVgprs: 23
; ScratchSize: 0
; MemoryBound: 0
; FloatMode: 240
; IeeeMode: 1
; LDSByteSize: 0 bytes/workgroup (compile time only)
; SGPRBlocks: 4
; VGPRBlocks: 2
; NumSGPRsForWavesPerEU: 36
; NumVGPRsForWavesPerEU: 23
; AccumOffset: 24
; Occupancy: 8
; WaveLimiterHint : 1
; COMPUTE_PGM_RSRC2:SCRATCH_EN: 0
; COMPUTE_PGM_RSRC2:USER_SGPR: 6
; COMPUTE_PGM_RSRC2:TRAP_HANDLER: 0
; COMPUTE_PGM_RSRC2:TGID_X_EN: 1
; COMPUTE_PGM_RSRC2:TGID_Y_EN: 0
; COMPUTE_PGM_RSRC2:TGID_Z_EN: 0
; COMPUTE_PGM_RSRC2:TIDIG_COMP_CNT: 0
; COMPUTE_PGM_RSRC3_GFX90A:ACCUM_OFFSET: 5
; COMPUTE_PGM_RSRC3_GFX90A:TG_SPLIT: 0
	.section	.text._ZN2at6native12_GLOBAL__N_124compute_grad_weight_bagsIN3c104HalfElEEvPKT0_PKT_S7_S7_lliS7_SA_lS7_PKlPNS_14AccumulateTypeIS8_Lb1EE4typeEl,"axG",@progbits,_ZN2at6native12_GLOBAL__N_124compute_grad_weight_bagsIN3c104HalfElEEvPKT0_PKT_S7_S7_lliS7_SA_lS7_PKlPNS_14AccumulateTypeIS8_Lb1EE4typeEl,comdat
	.globl	_ZN2at6native12_GLOBAL__N_124compute_grad_weight_bagsIN3c104HalfElEEvPKT0_PKT_S7_S7_lliS7_SA_lS7_PKlPNS_14AccumulateTypeIS8_Lb1EE4typeEl ; -- Begin function _ZN2at6native12_GLOBAL__N_124compute_grad_weight_bagsIN3c104HalfElEEvPKT0_PKT_S7_S7_lliS7_SA_lS7_PKlPNS_14AccumulateTypeIS8_Lb1EE4typeEl
	.p2align	8
	.type	_ZN2at6native12_GLOBAL__N_124compute_grad_weight_bagsIN3c104HalfElEEvPKT0_PKT_S7_S7_lliS7_SA_lS7_PKlPNS_14AccumulateTypeIS8_Lb1EE4typeEl,@function
_ZN2at6native12_GLOBAL__N_124compute_grad_weight_bagsIN3c104HalfElEEvPKT0_PKT_S7_S7_lliS7_SA_lS7_PKlPNS_14AccumulateTypeIS8_Lb1EE4typeEl: ; @_ZN2at6native12_GLOBAL__N_124compute_grad_weight_bagsIN3c104HalfElEEvPKT0_PKT_S7_S7_lliS7_SA_lS7_PKlPNS_14AccumulateTypeIS8_Lb1EE4typeEl
; %bb.0:
	s_load_dword s0, s[4:5], 0x7c
	s_load_dwordx4 s[24:27], s[4:5], 0x58
	s_load_dwordx2 s[2:3], s[4:5], 0x68
	v_mov_b32_e32 v1, 0
	v_mov_b32_e32 v2, s6
	s_waitcnt lgkmcnt(0)
	s_and_b32 s0, s0, 0xffff
	v_mad_u64_u32 v[2:3], s[0:1], s0, v2, v[0:1]
	v_or_b32_e32 v5, s3, v3
	v_mov_b32_e32 v4, v1
	v_cmp_ne_u64_e32 vcc, 0, v[4:5]
                                        ; implicit-def: $vgpr0_vgpr1
	s_and_saveexec_b64 s[0:1], vcc
	s_xor_b64 s[6:7], exec, s[0:1]
	s_cbranch_execz .LBB109_2
; %bb.1:
	s_ashr_i32 s8, s3, 31
	s_add_u32 s0, s2, s8
	s_mov_b32 s9, s8
	s_addc_u32 s1, s3, s8
	s_xor_b64 s[10:11], s[0:1], s[8:9]
	v_cvt_f32_u32_e32 v0, s10
	v_cvt_f32_u32_e32 v1, s11
	s_sub_u32 s0, 0, s10
	s_subb_u32 s1, 0, s11
	v_madmk_f32 v0, v1, 0x4f800000, v0
	v_rcp_f32_e32 v0, v0
	v_mul_f32_e32 v0, 0x5f7ffffc, v0
	v_mul_f32_e32 v1, 0x2f800000, v0
	v_trunc_f32_e32 v1, v1
	v_madmk_f32 v0, v1, 0xcf800000, v0
	v_cvt_u32_f32_e32 v1, v1
	v_cvt_u32_f32_e32 v0, v0
	v_mul_lo_u32 v4, s0, v1
	v_mul_hi_u32 v6, s0, v0
	v_mul_lo_u32 v5, s1, v0
	v_add_u32_e32 v4, v6, v4
	v_mul_lo_u32 v7, s0, v0
	v_add_u32_e32 v4, v4, v5
	v_mul_lo_u32 v6, v0, v4
	v_mul_hi_u32 v8, v0, v7
	v_mul_hi_u32 v5, v0, v4
	v_add_co_u32_e32 v6, vcc, v8, v6
	v_addc_co_u32_e32 v5, vcc, 0, v5, vcc
	v_mul_hi_u32 v9, v1, v7
	v_mul_lo_u32 v7, v1, v7
	v_add_co_u32_e32 v6, vcc, v6, v7
	v_mul_hi_u32 v8, v1, v4
	v_addc_co_u32_e32 v5, vcc, v5, v9, vcc
	v_addc_co_u32_e32 v6, vcc, 0, v8, vcc
	v_mul_lo_u32 v4, v1, v4
	v_add_co_u32_e32 v4, vcc, v5, v4
	v_addc_co_u32_e32 v5, vcc, 0, v6, vcc
	v_add_co_u32_e32 v0, vcc, v0, v4
	v_addc_co_u32_e32 v1, vcc, v1, v5, vcc
	v_mul_lo_u32 v4, s0, v1
	v_mul_hi_u32 v5, s0, v0
	v_add_u32_e32 v4, v5, v4
	v_mul_lo_u32 v5, s1, v0
	v_add_u32_e32 v4, v4, v5
	v_mul_lo_u32 v6, s0, v0
	v_mul_hi_u32 v7, v1, v6
	v_mul_lo_u32 v8, v1, v6
	v_mul_lo_u32 v10, v0, v4
	v_mul_hi_u32 v6, v0, v6
	v_mul_hi_u32 v9, v0, v4
	v_add_co_u32_e32 v6, vcc, v6, v10
	v_addc_co_u32_e32 v9, vcc, 0, v9, vcc
	v_add_co_u32_e32 v6, vcc, v6, v8
	v_mul_hi_u32 v5, v1, v4
	v_addc_co_u32_e32 v6, vcc, v9, v7, vcc
	v_addc_co_u32_e32 v5, vcc, 0, v5, vcc
	v_mul_lo_u32 v4, v1, v4
	v_add_co_u32_e32 v4, vcc, v6, v4
	v_addc_co_u32_e32 v5, vcc, 0, v5, vcc
	v_add_co_u32_e32 v4, vcc, v0, v4
	v_addc_co_u32_e32 v5, vcc, v1, v5, vcc
	v_ashrrev_i32_e32 v6, 31, v3
	v_add_co_u32_e32 v0, vcc, v2, v6
	v_addc_co_u32_e32 v1, vcc, v3, v6, vcc
	v_xor_b32_e32 v8, v0, v6
	v_xor_b32_e32 v7, v1, v6
	v_mad_u64_u32 v[0:1], s[0:1], v8, v5, 0
	v_mul_hi_u32 v9, v8, v4
	v_add_co_u32_e32 v9, vcc, v9, v0
	v_addc_co_u32_e32 v10, vcc, 0, v1, vcc
	v_mad_u64_u32 v[0:1], s[0:1], v7, v5, 0
	v_mad_u64_u32 v[4:5], s[0:1], v7, v4, 0
	v_add_co_u32_e32 v4, vcc, v9, v4
	v_addc_co_u32_e32 v4, vcc, v10, v5, vcc
	v_addc_co_u32_e32 v1, vcc, 0, v1, vcc
	v_add_co_u32_e32 v4, vcc, v4, v0
	v_addc_co_u32_e32 v5, vcc, 0, v1, vcc
	v_mul_lo_u32 v9, s11, v4
	v_mul_lo_u32 v10, s10, v5
	v_mad_u64_u32 v[0:1], s[0:1], s10, v4, 0
	v_add3_u32 v1, v1, v10, v9
	v_sub_u32_e32 v9, v7, v1
	v_mov_b32_e32 v10, s11
	v_sub_co_u32_e32 v0, vcc, v8, v0
	v_subb_co_u32_e64 v8, s[0:1], v9, v10, vcc
	v_subrev_co_u32_e64 v9, s[0:1], s10, v0
	v_subbrev_co_u32_e64 v8, s[0:1], 0, v8, s[0:1]
	v_cmp_le_u32_e64 s[0:1], s11, v8
	v_cndmask_b32_e64 v10, 0, -1, s[0:1]
	v_cmp_le_u32_e64 s[0:1], s10, v9
	v_cndmask_b32_e64 v9, 0, -1, s[0:1]
	v_cmp_eq_u32_e64 s[0:1], s11, v8
	v_cndmask_b32_e64 v8, v10, v9, s[0:1]
	v_add_co_u32_e64 v9, s[0:1], 2, v4
	v_subb_co_u32_e32 v1, vcc, v7, v1, vcc
	v_addc_co_u32_e64 v10, s[0:1], 0, v5, s[0:1]
	v_cmp_le_u32_e32 vcc, s11, v1
	v_add_co_u32_e64 v11, s[0:1], 1, v4
	v_cndmask_b32_e64 v7, 0, -1, vcc
	v_cmp_le_u32_e32 vcc, s10, v0
	v_addc_co_u32_e64 v12, s[0:1], 0, v5, s[0:1]
	v_cndmask_b32_e64 v0, 0, -1, vcc
	v_cmp_eq_u32_e32 vcc, s11, v1
	v_cmp_ne_u32_e64 s[0:1], 0, v8
	v_cndmask_b32_e32 v0, v7, v0, vcc
	v_cndmask_b32_e64 v8, v12, v10, s[0:1]
	v_cmp_ne_u32_e32 vcc, 0, v0
	v_cndmask_b32_e64 v1, v11, v9, s[0:1]
	v_cndmask_b32_e32 v0, v5, v8, vcc
	v_cndmask_b32_e32 v1, v4, v1, vcc
	v_xor_b32_e32 v4, s8, v6
	v_xor_b32_e32 v5, v0, v4
	;; [unrolled: 1-line block ×3, first 2 shown]
	v_sub_co_u32_e32 v0, vcc, v0, v4
	v_subb_co_u32_e32 v1, vcc, v5, v4, vcc
.LBB109_2:
	s_or_saveexec_b64 s[0:1], s[6:7]
	s_load_dwordx2 s[6:7], s[24:25], 0x0
	s_xor_b64 exec, exec, s[0:1]
	s_cbranch_execz .LBB109_4
; %bb.3:
	v_cvt_f32_u32_e32 v0, s2
	s_sub_i32 s8, 0, s2
	v_rcp_iflag_f32_e32 v0, v0
	v_mul_f32_e32 v0, 0x4f7ffffe, v0
	v_cvt_u32_f32_e32 v0, v0
	v_mul_lo_u32 v1, s8, v0
	v_mul_hi_u32 v1, v0, v1
	v_add_u32_e32 v0, v0, v1
	v_mul_hi_u32 v0, v2, v0
	v_mul_lo_u32 v1, v0, s2
	v_sub_u32_e32 v1, v2, v1
	v_add_u32_e32 v4, 1, v0
	v_subrev_u32_e32 v5, s2, v1
	v_cmp_le_u32_e32 vcc, s2, v1
	v_cndmask_b32_e32 v1, v1, v5, vcc
	v_cndmask_b32_e32 v0, v0, v4, vcc
	v_add_u32_e32 v4, 1, v0
	v_cmp_le_u32_e32 vcc, s2, v1
	v_cndmask_b32_e32 v0, v0, v4, vcc
	v_mov_b32_e32 v1, 0
.LBB109_4:
	s_or_b64 exec, exec, s[0:1]
	s_load_dwordx4 s[28:31], s[4:5], 0x20
	v_mul_lo_u32 v6, v1, s2
	v_mul_lo_u32 v7, v0, s3
	v_mad_u64_u32 v[4:5], s[0:1], v0, s2, 0
	v_add3_u32 v5, v5, v7, v6
	v_sub_co_u32_e32 v2, vcc, v2, v4
	v_subb_co_u32_e32 v3, vcc, v3, v5, vcc
	s_waitcnt lgkmcnt(0)
	v_cmp_gt_i64_e32 vcc, s[30:31], v[2:3]
	v_cmp_gt_i64_e64 s[0:1], s[6:7], v[0:1]
	s_and_b64 s[0:1], vcc, s[0:1]
	s_and_saveexec_b64 s[2:3], s[0:1]
	s_cbranch_execz .LBB109_18
; %bb.5:
	s_load_dwordx8 s[8:15], s[4:5], 0x38
	v_lshlrev_b64 v[4:5], 3, v[0:1]
	s_load_dwordx8 s[16:23], s[4:5], 0x0
	s_add_u32 s0, s6, -1
	s_addc_u32 s1, s7, -1
	s_waitcnt lgkmcnt(0)
	v_mov_b32_e32 v6, s15
	v_add_co_u32_e32 v8, vcc, s14, v4
	v_addc_co_u32_e32 v9, vcc, v6, v5, vcc
	global_load_dwordx2 v[4:5], v[8:9], off
	v_cmp_ne_u64_e32 vcc, s[0:1], v[0:1]
	v_pk_mov_b32 v[6:7], s[28:29], s[28:29] op_sel:[0,1]
	s_and_saveexec_b64 s[0:1], vcc
	s_cbranch_execz .LBB109_7
; %bb.6:
	global_load_dwordx2 v[6:7], v[8:9], off offset:8
.LBB109_7:
	s_or_b64 exec, exec, s[0:1]
	s_waitcnt vmcnt(0)
	v_cmp_lt_i32_e32 vcc, v4, v6
	v_mov_b32_e32 v5, 0
	s_and_saveexec_b64 s[6:7], vcc
	s_cbranch_execz .LBB109_17
; %bb.8:
	v_lshlrev_b64 v[8:9], 1, v[2:3]
	v_mov_b32_e32 v5, s19
	v_add_co_u32_e32 v7, vcc, s18, v8
	v_addc_co_u32_e32 v20, vcc, v5, v9, vcc
	v_ashrrev_i32_e32 v5, 31, v4
	s_load_dword s14, s[4:5], 0x30
	v_lshlrev_b64 v[10:11], 3, v[4:5]
	v_mov_b32_e32 v5, s17
	v_add_co_u32_e32 v8, vcc, s16, v10
	s_cmp_lg_u64 s[22:23], 0
	v_addc_co_u32_e32 v9, vcc, v5, v11, vcc
	s_cselect_b64 s[0:1], -1, 0
	s_cmp_lg_u64 s[10:11], 0
	v_mov_b32_e32 v5, s23
	v_add_co_u32_e32 v10, vcc, s22, v10
	s_cselect_b64 s[2:3], -1, 0
	v_addc_co_u32_e32 v11, vcc, v5, v11, vcc
	v_cndmask_b32_e64 v5, 0, 1, s[0:1]
	s_waitcnt lgkmcnt(0)
	s_cmp_lg_u32 s14, 0
	v_cmp_ne_u32_e64 s[0:1], 1, v5
	v_cndmask_b32_e64 v5, 0, 1, s[2:3]
	s_mov_b64 s[4:5], 0
	s_mov_b32 s18, s30
	s_cselect_b64 s[14:15], -1, 0
	v_mov_b32_e32 v12, 0
	v_mov_b32_e32 v21, s21
	v_cmp_ne_u32_e64 s[2:3], 1, v5
	v_mov_b32_e32 v5, 0
	s_branch .LBB109_10
.LBB109_9:                              ;   in Loop: Header=BB109_10 Depth=1
	v_add_co_u32_e32 v8, vcc, 8, v8
	v_add_u32_e32 v4, 1, v4
	v_addc_co_u32_e32 v9, vcc, 0, v9, vcc
	v_cmp_ge_i32_e32 vcc, v4, v6
	s_or_b64 s[4:5], vcc, s[4:5]
	v_add_co_u32_e32 v10, vcc, 8, v10
	v_fmac_f32_e32 v5, v18, v15
	v_addc_co_u32_e32 v11, vcc, 0, v11, vcc
	s_andn2_b64 exec, exec, s[4:5]
	s_cbranch_execz .LBB109_16
.LBB109_10:                             ; =>This Inner Loop Header: Depth=1
	global_load_dword v16, v[8:9], off
	s_waitcnt vmcnt(0)
	v_ashrrev_i32_e32 v17, 31, v16
	v_lshlrev_b64 v[14:15], 3, v[16:17]
	v_add_co_u32_e32 v14, vcc, s20, v14
	v_addc_co_u32_e32 v15, vcc, v21, v15, vcc
	global_load_dwordx2 v[14:15], v[14:15], off
	s_and_b64 vcc, exec, s[0:1]
	s_cbranch_vccnz .LBB109_15
; %bb.11:                               ;   in Loop: Header=BB109_10 Depth=1
	global_load_dwordx2 v[18:19], v[10:11], off
	s_waitcnt vmcnt(0)
	v_cvt_f64_i32_e32 v[22:23], v19
	v_cvt_f64_u32_e32 v[18:19], v18
	v_ldexp_f64 v[22:23], v[22:23], 32
	v_add_f64 v[18:19], v[22:23], v[18:19]
	v_div_scale_f64 v[22:23], s[16:17], v[18:19], v[18:19], 1.0
	v_rcp_f64_e32 v[24:25], v[22:23]
	v_div_scale_f64 v[26:27], vcc, 1.0, v[18:19], 1.0
	v_fma_f64 v[28:29], -v[22:23], v[24:25], 1.0
	v_fmac_f64_e32 v[24:25], v[24:25], v[28:29]
	v_fma_f64 v[28:29], -v[22:23], v[24:25], 1.0
	v_fmac_f64_e32 v[24:25], v[24:25], v[28:29]
	v_mul_f64 v[28:29], v[26:27], v[24:25]
	v_fma_f64 v[22:23], -v[22:23], v[28:29], v[26:27]
	v_div_fmas_f64 v[22:23], v[22:23], v[24:25], v[28:29]
	v_div_fixup_f64 v[18:19], v[22:23], v[18:19], 1.0
	s_and_b64 vcc, exec, s[2:3]
	v_cvt_f32_f64_e32 v18, v[18:19]
	s_cbranch_vccnz .LBB109_13
.LBB109_12:                             ;   in Loop: Header=BB109_10 Depth=1
	v_mul_lo_u32 v13, v17, s12
	v_mul_lo_u32 v19, v16, s13
	v_mad_u64_u32 v[16:17], s[16:17], v16, s12, 0
	v_add3_u32 v17, v17, v19, v13
	v_lshlrev_b64 v[16:17], 1, v[16:17]
	v_mov_b32_e32 v13, s11
	v_add_co_u32_e32 v16, vcc, s10, v16
	v_addc_co_u32_e32 v17, vcc, v13, v17, vcc
	global_load_ushort v13, v[16:17], off
	s_waitcnt vmcnt(0)
	v_cvt_f32_f16_e32 v13, v13
	v_mul_f32_e32 v18, v18, v13
.LBB109_13:                             ;   in Loop: Header=BB109_10 Depth=1
	s_waitcnt vmcnt(0)
	v_mul_lo_u32 v13, s18, v14
	v_mul_lo_u32 v15, 0, v15
	v_mad_u64_u32 v[16:17], s[16:17], 0, v14, 0
	v_add3_u32 v17, v17, v15, v13
	v_ashrrev_i64 v[16:17], 31, v[16:17]
	v_add_co_u32_e32 v16, vcc, v7, v16
	v_addc_co_u32_e32 v17, vcc, v20, v17, vcc
	global_load_ushort v13, v[16:17], off
	s_andn2_b64 vcc, exec, s[14:15]
	s_waitcnt vmcnt(0)
	v_cvt_f32_f16_e32 v15, v13
	s_cbranch_vccnz .LBB109_9
; %bb.14:                               ;   in Loop: Header=BB109_10 Depth=1
	v_mov_b32_e32 v13, v14
	v_ashrrev_i64 v[16:17], 29, v[12:13]
	v_mov_b32_e32 v13, s9
	v_add_co_u32_e32 v16, vcc, s8, v16
	v_addc_co_u32_e32 v17, vcc, v13, v17, vcc
	global_load_dwordx2 v[16:17], v[16:17], off
	s_waitcnt vmcnt(0)
	v_xor_b32_e32 v13, v16, v17
	v_ffbh_i32_e32 v14, v17
	v_ashrrev_i32_e32 v13, 31, v13
	v_add_u32_e32 v14, -1, v14
	v_add_u32_e32 v13, 32, v13
	v_min_u32_e32 v13, v14, v13
	v_lshlrev_b64 v[16:17], v13, v[16:17]
	v_min_u32_e32 v14, 1, v16
	v_or_b32_e32 v14, v17, v14
	v_cvt_f32_i32_e32 v14, v14
	v_sub_u32_e32 v13, 32, v13
	v_ldexp_f32 v13, v14, v13
	v_div_scale_f32 v14, s[16:17], v13, v13, v15
	v_rcp_f32_e32 v16, v14
	v_div_scale_f32 v17, vcc, v15, v13, v15
	v_fma_f32 v19, -v14, v16, 1.0
	v_fmac_f32_e32 v16, v19, v16
	v_mul_f32_e32 v19, v17, v16
	v_fma_f32 v22, -v14, v19, v17
	v_fmac_f32_e32 v19, v22, v16
	v_fma_f32 v14, -v14, v19, v17
	v_div_fmas_f32 v14, v14, v16, v19
	v_div_fixup_f32 v15, v14, v13, v15
	s_branch .LBB109_9
.LBB109_15:                             ;   in Loop: Header=BB109_10 Depth=1
	v_mov_b32_e32 v18, 0
	v_mov_b32_e32 v19, 0x3ff00000
	s_and_b64 vcc, exec, s[2:3]
	v_cvt_f32_f64_e32 v18, v[18:19]
	s_cbranch_vccz .LBB109_12
	s_branch .LBB109_13
.LBB109_16:
	s_or_b64 exec, exec, s[4:5]
.LBB109_17:
	s_or_b64 exec, exec, s[6:7]
	v_mul_lo_u32 v4, v1, s30
	v_mul_lo_u32 v6, v0, s31
	v_mad_u64_u32 v[0:1], s[0:1], v0, s30, 0
	v_add3_u32 v1, v1, v6, v4
	v_lshlrev_b64 v[0:1], 2, v[0:1]
	v_mov_b32_e32 v4, s27
	v_add_co_u32_e32 v6, vcc, s26, v0
	v_addc_co_u32_e32 v4, vcc, v4, v1, vcc
	v_lshlrev_b64 v[0:1], 2, v[2:3]
	v_add_co_u32_e32 v0, vcc, v6, v0
	v_addc_co_u32_e32 v1, vcc, v4, v1, vcc
	global_store_dword v[0:1], v5, off
.LBB109_18:
	s_endpgm
	.section	.rodata,"a",@progbits
	.p2align	6, 0x0
	.amdhsa_kernel _ZN2at6native12_GLOBAL__N_124compute_grad_weight_bagsIN3c104HalfElEEvPKT0_PKT_S7_S7_lliS7_SA_lS7_PKlPNS_14AccumulateTypeIS8_Lb1EE4typeEl
		.amdhsa_group_segment_fixed_size 0
		.amdhsa_private_segment_fixed_size 0
		.amdhsa_kernarg_size 368
		.amdhsa_user_sgpr_count 6
		.amdhsa_user_sgpr_private_segment_buffer 1
		.amdhsa_user_sgpr_dispatch_ptr 0
		.amdhsa_user_sgpr_queue_ptr 0
		.amdhsa_user_sgpr_kernarg_segment_ptr 1
		.amdhsa_user_sgpr_dispatch_id 0
		.amdhsa_user_sgpr_flat_scratch_init 0
		.amdhsa_user_sgpr_kernarg_preload_length 0
		.amdhsa_user_sgpr_kernarg_preload_offset 0
		.amdhsa_user_sgpr_private_segment_size 0
		.amdhsa_uses_dynamic_stack 0
		.amdhsa_system_sgpr_private_segment_wavefront_offset 0
		.amdhsa_system_sgpr_workgroup_id_x 1
		.amdhsa_system_sgpr_workgroup_id_y 0
		.amdhsa_system_sgpr_workgroup_id_z 0
		.amdhsa_system_sgpr_workgroup_info 0
		.amdhsa_system_vgpr_workitem_id 0
		.amdhsa_next_free_vgpr 30
		.amdhsa_next_free_sgpr 32
		.amdhsa_accum_offset 32
		.amdhsa_reserve_vcc 1
		.amdhsa_reserve_flat_scratch 0
		.amdhsa_float_round_mode_32 0
		.amdhsa_float_round_mode_16_64 0
		.amdhsa_float_denorm_mode_32 3
		.amdhsa_float_denorm_mode_16_64 3
		.amdhsa_dx10_clamp 1
		.amdhsa_ieee_mode 1
		.amdhsa_fp16_overflow 0
		.amdhsa_tg_split 0
		.amdhsa_exception_fp_ieee_invalid_op 0
		.amdhsa_exception_fp_denorm_src 0
		.amdhsa_exception_fp_ieee_div_zero 0
		.amdhsa_exception_fp_ieee_overflow 0
		.amdhsa_exception_fp_ieee_underflow 0
		.amdhsa_exception_fp_ieee_inexact 0
		.amdhsa_exception_int_div_zero 0
	.end_amdhsa_kernel
	.section	.text._ZN2at6native12_GLOBAL__N_124compute_grad_weight_bagsIN3c104HalfElEEvPKT0_PKT_S7_S7_lliS7_SA_lS7_PKlPNS_14AccumulateTypeIS8_Lb1EE4typeEl,"axG",@progbits,_ZN2at6native12_GLOBAL__N_124compute_grad_weight_bagsIN3c104HalfElEEvPKT0_PKT_S7_S7_lliS7_SA_lS7_PKlPNS_14AccumulateTypeIS8_Lb1EE4typeEl,comdat
.Lfunc_end109:
	.size	_ZN2at6native12_GLOBAL__N_124compute_grad_weight_bagsIN3c104HalfElEEvPKT0_PKT_S7_S7_lliS7_SA_lS7_PKlPNS_14AccumulateTypeIS8_Lb1EE4typeEl, .Lfunc_end109-_ZN2at6native12_GLOBAL__N_124compute_grad_weight_bagsIN3c104HalfElEEvPKT0_PKT_S7_S7_lliS7_SA_lS7_PKlPNS_14AccumulateTypeIS8_Lb1EE4typeEl
                                        ; -- End function
	.section	.AMDGPU.csdata,"",@progbits
; Kernel info:
; codeLenInByte = 1852
; NumSgprs: 36
; NumVgprs: 30
; NumAgprs: 0
; TotalNumVgprs: 30
; ScratchSize: 0
; MemoryBound: 0
; FloatMode: 240
; IeeeMode: 1
; LDSByteSize: 0 bytes/workgroup (compile time only)
; SGPRBlocks: 4
; VGPRBlocks: 3
; NumSGPRsForWavesPerEU: 36
; NumVGPRsForWavesPerEU: 30
; AccumOffset: 32
; Occupancy: 8
; WaveLimiterHint : 1
; COMPUTE_PGM_RSRC2:SCRATCH_EN: 0
; COMPUTE_PGM_RSRC2:USER_SGPR: 6
; COMPUTE_PGM_RSRC2:TRAP_HANDLER: 0
; COMPUTE_PGM_RSRC2:TGID_X_EN: 1
; COMPUTE_PGM_RSRC2:TGID_Y_EN: 0
; COMPUTE_PGM_RSRC2:TGID_Z_EN: 0
; COMPUTE_PGM_RSRC2:TIDIG_COMP_CNT: 0
; COMPUTE_PGM_RSRC3_GFX90A:ACCUM_OFFSET: 7
; COMPUTE_PGM_RSRC3_GFX90A:TG_SPLIT: 0
	.section	.text._ZN2at6native12_GLOBAL__N_119compute_grad_weightIN3c104HalfElEEvPKT0_PKT_S7_llS7_PKlPNS_14AccumulateTypeIS8_Lb1EE4typeEl,"axG",@progbits,_ZN2at6native12_GLOBAL__N_119compute_grad_weightIN3c104HalfElEEvPKT0_PKT_S7_llS7_PKlPNS_14AccumulateTypeIS8_Lb1EE4typeEl,comdat
	.globl	_ZN2at6native12_GLOBAL__N_119compute_grad_weightIN3c104HalfElEEvPKT0_PKT_S7_llS7_PKlPNS_14AccumulateTypeIS8_Lb1EE4typeEl ; -- Begin function _ZN2at6native12_GLOBAL__N_119compute_grad_weightIN3c104HalfElEEvPKT0_PKT_S7_llS7_PKlPNS_14AccumulateTypeIS8_Lb1EE4typeEl
	.p2align	8
	.type	_ZN2at6native12_GLOBAL__N_119compute_grad_weightIN3c104HalfElEEvPKT0_PKT_S7_llS7_PKlPNS_14AccumulateTypeIS8_Lb1EE4typeEl,@function
_ZN2at6native12_GLOBAL__N_119compute_grad_weightIN3c104HalfElEEvPKT0_PKT_S7_llS7_PKlPNS_14AccumulateTypeIS8_Lb1EE4typeEl: ; @_ZN2at6native12_GLOBAL__N_119compute_grad_weightIN3c104HalfElEEvPKT0_PKT_S7_llS7_PKlPNS_14AccumulateTypeIS8_Lb1EE4typeEl
; %bb.0:
	s_load_dword s0, s[4:5], 0x54
	s_load_dwordx2 s[2:3], s[4:5], 0x40
	s_load_dwordx16 s[8:23], s[4:5], 0x0
	v_mov_b32_e32 v1, 0
	v_mov_b32_e32 v2, s6
	s_waitcnt lgkmcnt(0)
	s_and_b32 s0, s0, 0xffff
	v_mad_u64_u32 v[2:3], s[0:1], s0, v2, v[0:1]
	v_or_b32_e32 v5, s3, v3
	v_mov_b32_e32 v4, v1
	v_cmp_ne_u64_e32 vcc, 0, v[4:5]
                                        ; implicit-def: $vgpr0_vgpr1
	s_and_saveexec_b64 s[0:1], vcc
	s_xor_b64 s[4:5], exec, s[0:1]
	s_cbranch_execz .LBB110_2
; %bb.1:
	s_ashr_i32 s6, s3, 31
	s_add_u32 s0, s2, s6
	s_mov_b32 s7, s6
	s_addc_u32 s1, s3, s6
	s_xor_b64 s[24:25], s[0:1], s[6:7]
	v_cvt_f32_u32_e32 v0, s24
	v_cvt_f32_u32_e32 v1, s25
	s_sub_u32 s0, 0, s24
	s_subb_u32 s1, 0, s25
	v_madmk_f32 v0, v1, 0x4f800000, v0
	v_rcp_f32_e32 v0, v0
	v_mul_f32_e32 v0, 0x5f7ffffc, v0
	v_mul_f32_e32 v1, 0x2f800000, v0
	v_trunc_f32_e32 v1, v1
	v_madmk_f32 v0, v1, 0xcf800000, v0
	v_cvt_u32_f32_e32 v1, v1
	v_cvt_u32_f32_e32 v0, v0
	v_mul_lo_u32 v4, s0, v1
	v_mul_hi_u32 v6, s0, v0
	v_mul_lo_u32 v5, s1, v0
	v_add_u32_e32 v4, v6, v4
	v_mul_lo_u32 v7, s0, v0
	v_add_u32_e32 v4, v4, v5
	v_mul_lo_u32 v6, v0, v4
	v_mul_hi_u32 v8, v0, v7
	v_mul_hi_u32 v5, v0, v4
	v_add_co_u32_e32 v6, vcc, v8, v6
	v_addc_co_u32_e32 v5, vcc, 0, v5, vcc
	v_mul_hi_u32 v9, v1, v7
	v_mul_lo_u32 v7, v1, v7
	v_add_co_u32_e32 v6, vcc, v6, v7
	v_mul_hi_u32 v8, v1, v4
	v_addc_co_u32_e32 v5, vcc, v5, v9, vcc
	v_addc_co_u32_e32 v6, vcc, 0, v8, vcc
	v_mul_lo_u32 v4, v1, v4
	v_add_co_u32_e32 v4, vcc, v5, v4
	v_addc_co_u32_e32 v5, vcc, 0, v6, vcc
	v_add_co_u32_e32 v0, vcc, v0, v4
	v_addc_co_u32_e32 v1, vcc, v1, v5, vcc
	v_mul_lo_u32 v4, s0, v1
	v_mul_hi_u32 v5, s0, v0
	v_add_u32_e32 v4, v5, v4
	v_mul_lo_u32 v5, s1, v0
	v_add_u32_e32 v4, v4, v5
	v_mul_lo_u32 v6, s0, v0
	v_mul_hi_u32 v7, v1, v6
	v_mul_lo_u32 v8, v1, v6
	v_mul_lo_u32 v10, v0, v4
	v_mul_hi_u32 v6, v0, v6
	v_mul_hi_u32 v9, v0, v4
	v_add_co_u32_e32 v6, vcc, v6, v10
	v_addc_co_u32_e32 v9, vcc, 0, v9, vcc
	v_add_co_u32_e32 v6, vcc, v6, v8
	v_mul_hi_u32 v5, v1, v4
	v_addc_co_u32_e32 v6, vcc, v9, v7, vcc
	v_addc_co_u32_e32 v5, vcc, 0, v5, vcc
	v_mul_lo_u32 v4, v1, v4
	v_add_co_u32_e32 v4, vcc, v6, v4
	v_addc_co_u32_e32 v5, vcc, 0, v5, vcc
	v_add_co_u32_e32 v4, vcc, v0, v4
	v_addc_co_u32_e32 v5, vcc, v1, v5, vcc
	v_ashrrev_i32_e32 v6, 31, v3
	v_add_co_u32_e32 v0, vcc, v2, v6
	v_addc_co_u32_e32 v1, vcc, v3, v6, vcc
	v_xor_b32_e32 v8, v0, v6
	v_xor_b32_e32 v7, v1, v6
	v_mad_u64_u32 v[0:1], s[0:1], v8, v5, 0
	v_mul_hi_u32 v9, v8, v4
	v_add_co_u32_e32 v9, vcc, v9, v0
	v_addc_co_u32_e32 v10, vcc, 0, v1, vcc
	v_mad_u64_u32 v[0:1], s[0:1], v7, v5, 0
	v_mad_u64_u32 v[4:5], s[0:1], v7, v4, 0
	v_add_co_u32_e32 v4, vcc, v9, v4
	v_addc_co_u32_e32 v4, vcc, v10, v5, vcc
	v_addc_co_u32_e32 v1, vcc, 0, v1, vcc
	v_add_co_u32_e32 v4, vcc, v4, v0
	v_addc_co_u32_e32 v5, vcc, 0, v1, vcc
	v_mul_lo_u32 v9, s25, v4
	v_mul_lo_u32 v10, s24, v5
	v_mad_u64_u32 v[0:1], s[0:1], s24, v4, 0
	v_add3_u32 v1, v1, v10, v9
	v_sub_u32_e32 v9, v7, v1
	v_mov_b32_e32 v10, s25
	v_sub_co_u32_e32 v0, vcc, v8, v0
	v_subb_co_u32_e64 v8, s[0:1], v9, v10, vcc
	v_subrev_co_u32_e64 v9, s[0:1], s24, v0
	v_subbrev_co_u32_e64 v8, s[0:1], 0, v8, s[0:1]
	v_cmp_le_u32_e64 s[0:1], s25, v8
	v_cndmask_b32_e64 v10, 0, -1, s[0:1]
	v_cmp_le_u32_e64 s[0:1], s24, v9
	v_cndmask_b32_e64 v9, 0, -1, s[0:1]
	v_cmp_eq_u32_e64 s[0:1], s25, v8
	v_cndmask_b32_e64 v8, v10, v9, s[0:1]
	v_add_co_u32_e64 v9, s[0:1], 2, v4
	v_subb_co_u32_e32 v1, vcc, v7, v1, vcc
	v_addc_co_u32_e64 v10, s[0:1], 0, v5, s[0:1]
	v_cmp_le_u32_e32 vcc, s25, v1
	v_add_co_u32_e64 v11, s[0:1], 1, v4
	v_cndmask_b32_e64 v7, 0, -1, vcc
	v_cmp_le_u32_e32 vcc, s24, v0
	v_addc_co_u32_e64 v12, s[0:1], 0, v5, s[0:1]
	v_cndmask_b32_e64 v0, 0, -1, vcc
	v_cmp_eq_u32_e32 vcc, s25, v1
	v_cmp_ne_u32_e64 s[0:1], 0, v8
	v_cndmask_b32_e32 v0, v7, v0, vcc
	v_cndmask_b32_e64 v8, v12, v10, s[0:1]
	v_cmp_ne_u32_e32 vcc, 0, v0
	v_cndmask_b32_e64 v1, v11, v9, s[0:1]
	v_cndmask_b32_e32 v0, v5, v8, vcc
	v_cndmask_b32_e32 v1, v4, v1, vcc
	v_xor_b32_e32 v4, s6, v6
	v_xor_b32_e32 v5, v0, v4
	;; [unrolled: 1-line block ×3, first 2 shown]
	v_sub_co_u32_e32 v0, vcc, v0, v4
	v_subb_co_u32_e32 v1, vcc, v5, v4, vcc
.LBB110_2:
	s_or_saveexec_b64 s[0:1], s[4:5]
	s_load_dwordx2 s[4:5], s[20:21], 0x0
	s_xor_b64 exec, exec, s[0:1]
	s_cbranch_execz .LBB110_4
; %bb.3:
	v_cvt_f32_u32_e32 v0, s2
	s_sub_i32 s6, 0, s2
	v_rcp_iflag_f32_e32 v0, v0
	v_mul_f32_e32 v0, 0x4f7ffffe, v0
	v_cvt_u32_f32_e32 v0, v0
	v_mul_lo_u32 v1, s6, v0
	v_mul_hi_u32 v1, v0, v1
	v_add_u32_e32 v0, v0, v1
	v_mul_hi_u32 v0, v2, v0
	v_mul_lo_u32 v1, v0, s2
	v_sub_u32_e32 v1, v2, v1
	v_add_u32_e32 v4, 1, v0
	v_subrev_u32_e32 v5, s2, v1
	v_cmp_le_u32_e32 vcc, s2, v1
	v_cndmask_b32_e32 v1, v1, v5, vcc
	v_cndmask_b32_e32 v0, v0, v4, vcc
	v_add_u32_e32 v4, 1, v0
	v_cmp_le_u32_e32 vcc, s2, v1
	v_cndmask_b32_e32 v0, v0, v4, vcc
	v_mov_b32_e32 v1, 0
.LBB110_4:
	s_or_b64 exec, exec, s[0:1]
	v_mul_lo_u32 v6, v1, s2
	v_mul_lo_u32 v7, v0, s3
	v_mad_u64_u32 v[4:5], s[0:1], v0, s2, 0
	v_add3_u32 v5, v5, v7, v6
	v_sub_co_u32_e32 v2, vcc, v2, v4
	v_subb_co_u32_e32 v3, vcc, v3, v5, vcc
	v_cmp_gt_i64_e32 vcc, s[16:17], v[2:3]
	s_waitcnt lgkmcnt(0)
	v_cmp_gt_i64_e64 s[0:1], s[4:5], v[0:1]
	s_and_b64 s[0:1], vcc, s[0:1]
	s_and_saveexec_b64 s[2:3], s[0:1]
	s_cbranch_execz .LBB110_15
; %bb.5:
	v_lshlrev_b64 v[4:5], 3, v[0:1]
	v_mov_b32_e32 v6, s19
	v_add_co_u32_e32 v8, vcc, s18, v4
	v_addc_co_u32_e32 v9, vcc, v6, v5, vcc
	global_load_dwordx2 v[4:5], v[8:9], off
	s_add_u32 s0, s4, -1
	s_addc_u32 s1, s5, -1
	v_cmp_ne_u64_e32 vcc, s[0:1], v[0:1]
	v_pk_mov_b32 v[6:7], s[14:15], s[14:15] op_sel:[0,1]
	s_and_saveexec_b64 s[0:1], vcc
	s_cbranch_execz .LBB110_7
; %bb.6:
	global_load_dwordx2 v[6:7], v[8:9], off offset:8
.LBB110_7:
	s_or_b64 exec, exec, s[0:1]
	s_waitcnt vmcnt(0)
	v_cmp_lt_i32_e32 vcc, v4, v6
	v_mov_b32_e32 v5, 0
	s_and_saveexec_b64 s[2:3], vcc
	s_cbranch_execz .LBB110_14
; %bb.8:
	v_lshlrev_b64 v[8:9], 1, v[2:3]
	v_mov_b32_e32 v5, s11
	v_add_co_u32_e32 v7, vcc, s10, v8
	v_addc_co_u32_e32 v14, vcc, v5, v9, vcc
	v_ashrrev_i32_e32 v5, 31, v4
	v_lshlrev_b64 v[10:11], 3, v[4:5]
	s_cmp_lg_u64 s[12:13], 0
	v_mov_b32_e32 v5, s9
	v_add_co_u32_e32 v8, vcc, s8, v10
	v_addc_co_u32_e32 v9, vcc, v5, v11, vcc
	s_cselect_b64 s[0:1], -1, 0
	v_mov_b32_e32 v5, s13
	v_add_co_u32_e32 v10, vcc, s12, v10
	v_cndmask_b32_e64 v12, 0, 1, s[0:1]
	s_mov_b64 s[4:5], 0
	v_addc_co_u32_e32 v11, vcc, v5, v11, vcc
	v_mov_b32_e32 v5, 0
	v_cmp_ne_u32_e64 s[0:1], 1, v12
	s_branch .LBB110_11
.LBB110_9:                              ;   in Loop: Header=BB110_11 Depth=1
	global_load_dwordx2 v[16:17], v[10:11], off
	s_waitcnt vmcnt(0)
	v_xor_b32_e32 v18, v16, v17
	v_ffbh_i32_e32 v15, v17
	v_ashrrev_i32_e32 v18, 31, v18
	v_add_u32_e32 v15, -1, v15
	v_add_u32_e32 v18, 32, v18
	v_min_u32_e32 v15, v15, v18
	v_lshlrev_b64 v[16:17], v15, v[16:17]
	v_min_u32_e32 v16, 1, v16
	v_or_b32_e32 v16, v17, v16
	v_cvt_f32_i32_e32 v16, v16
	v_sub_u32_e32 v15, 32, v15
	v_ldexp_f32 v15, v16, v15
	v_div_scale_f32 v16, s[6:7], v15, v15, 1.0
	v_rcp_f32_e32 v17, v16
	v_div_scale_f32 v18, vcc, 1.0, v15, 1.0
	v_fma_f32 v19, -v16, v17, 1.0
	v_fmac_f32_e32 v17, v19, v17
	v_mul_f32_e32 v19, v18, v17
	v_fma_f32 v20, -v16, v19, v18
	v_fmac_f32_e32 v19, v20, v17
	v_fma_f32 v16, -v16, v19, v18
	v_div_fmas_f32 v16, v16, v17, v19
	v_div_fixup_f32 v15, v16, v15, 1.0
.LBB110_10:                             ;   in Loop: Header=BB110_11 Depth=1
	s_waitcnt vmcnt(0)
	v_mul_lo_u32 v16, v13, s16
	v_mul_lo_u32 v17, v12, s17
	v_mad_u64_u32 v[12:13], s[6:7], v12, s16, 0
	v_add3_u32 v13, v13, v17, v16
	v_lshlrev_b64 v[12:13], 1, v[12:13]
	v_add_co_u32_e32 v12, vcc, v7, v12
	v_addc_co_u32_e32 v13, vcc, v14, v13, vcc
	global_load_ushort v12, v[12:13], off
	v_add_co_u32_e32 v8, vcc, 8, v8
	v_add_u32_e32 v4, 1, v4
	v_addc_co_u32_e32 v9, vcc, 0, v9, vcc
	v_cmp_ge_i32_e32 vcc, v4, v6
	s_or_b64 s[4:5], vcc, s[4:5]
	v_add_co_u32_e32 v10, vcc, 8, v10
	v_addc_co_u32_e32 v11, vcc, 0, v11, vcc
	s_waitcnt vmcnt(0)
	v_fma_mix_f32 v5, v15, v12, v5 op_sel_hi:[0,1,0]
	s_andn2_b64 exec, exec, s[4:5]
	s_cbranch_execz .LBB110_13
.LBB110_11:                             ; =>This Inner Loop Header: Depth=1
	global_load_dwordx2 v[12:13], v[8:9], off
	s_and_b64 vcc, exec, s[0:1]
	s_cbranch_vccz .LBB110_9
; %bb.12:                               ;   in Loop: Header=BB110_11 Depth=1
	v_mov_b32_e32 v15, 1.0
	s_branch .LBB110_10
.LBB110_13:
	s_or_b64 exec, exec, s[4:5]
.LBB110_14:
	s_or_b64 exec, exec, s[2:3]
	v_mul_lo_u32 v4, v1, s16
	v_mul_lo_u32 v6, v0, s17
	v_mad_u64_u32 v[0:1], s[0:1], v0, s16, 0
	v_add3_u32 v1, v1, v6, v4
	v_lshlrev_b64 v[0:1], 2, v[0:1]
	v_mov_b32_e32 v4, s23
	v_add_co_u32_e32 v6, vcc, s22, v0
	v_addc_co_u32_e32 v4, vcc, v4, v1, vcc
	v_lshlrev_b64 v[0:1], 2, v[2:3]
	v_add_co_u32_e32 v0, vcc, v6, v0
	v_addc_co_u32_e32 v1, vcc, v4, v1, vcc
	global_store_dword v[0:1], v5, off
.LBB110_15:
	s_endpgm
	.section	.rodata,"a",@progbits
	.p2align	6, 0x0
	.amdhsa_kernel _ZN2at6native12_GLOBAL__N_119compute_grad_weightIN3c104HalfElEEvPKT0_PKT_S7_llS7_PKlPNS_14AccumulateTypeIS8_Lb1EE4typeEl
		.amdhsa_group_segment_fixed_size 0
		.amdhsa_private_segment_fixed_size 0
		.amdhsa_kernarg_size 328
		.amdhsa_user_sgpr_count 6
		.amdhsa_user_sgpr_private_segment_buffer 1
		.amdhsa_user_sgpr_dispatch_ptr 0
		.amdhsa_user_sgpr_queue_ptr 0
		.amdhsa_user_sgpr_kernarg_segment_ptr 1
		.amdhsa_user_sgpr_dispatch_id 0
		.amdhsa_user_sgpr_flat_scratch_init 0
		.amdhsa_user_sgpr_kernarg_preload_length 0
		.amdhsa_user_sgpr_kernarg_preload_offset 0
		.amdhsa_user_sgpr_private_segment_size 0
		.amdhsa_uses_dynamic_stack 0
		.amdhsa_system_sgpr_private_segment_wavefront_offset 0
		.amdhsa_system_sgpr_workgroup_id_x 1
		.amdhsa_system_sgpr_workgroup_id_y 0
		.amdhsa_system_sgpr_workgroup_id_z 0
		.amdhsa_system_sgpr_workgroup_info 0
		.amdhsa_system_vgpr_workitem_id 0
		.amdhsa_next_free_vgpr 21
		.amdhsa_next_free_sgpr 26
		.amdhsa_accum_offset 24
		.amdhsa_reserve_vcc 1
		.amdhsa_reserve_flat_scratch 0
		.amdhsa_float_round_mode_32 0
		.amdhsa_float_round_mode_16_64 0
		.amdhsa_float_denorm_mode_32 3
		.amdhsa_float_denorm_mode_16_64 3
		.amdhsa_dx10_clamp 1
		.amdhsa_ieee_mode 1
		.amdhsa_fp16_overflow 0
		.amdhsa_tg_split 0
		.amdhsa_exception_fp_ieee_invalid_op 0
		.amdhsa_exception_fp_denorm_src 0
		.amdhsa_exception_fp_ieee_div_zero 0
		.amdhsa_exception_fp_ieee_overflow 0
		.amdhsa_exception_fp_ieee_underflow 0
		.amdhsa_exception_fp_ieee_inexact 0
		.amdhsa_exception_int_div_zero 0
	.end_amdhsa_kernel
	.section	.text._ZN2at6native12_GLOBAL__N_119compute_grad_weightIN3c104HalfElEEvPKT0_PKT_S7_llS7_PKlPNS_14AccumulateTypeIS8_Lb1EE4typeEl,"axG",@progbits,_ZN2at6native12_GLOBAL__N_119compute_grad_weightIN3c104HalfElEEvPKT0_PKT_S7_llS7_PKlPNS_14AccumulateTypeIS8_Lb1EE4typeEl,comdat
.Lfunc_end110:
	.size	_ZN2at6native12_GLOBAL__N_119compute_grad_weightIN3c104HalfElEEvPKT0_PKT_S7_llS7_PKlPNS_14AccumulateTypeIS8_Lb1EE4typeEl, .Lfunc_end110-_ZN2at6native12_GLOBAL__N_119compute_grad_weightIN3c104HalfElEEvPKT0_PKT_S7_llS7_PKlPNS_14AccumulateTypeIS8_Lb1EE4typeEl
                                        ; -- End function
	.section	.AMDGPU.csdata,"",@progbits
; Kernel info:
; codeLenInByte = 1484
; NumSgprs: 30
; NumVgprs: 21
; NumAgprs: 0
; TotalNumVgprs: 21
; ScratchSize: 0
; MemoryBound: 0
; FloatMode: 240
; IeeeMode: 1
; LDSByteSize: 0 bytes/workgroup (compile time only)
; SGPRBlocks: 3
; VGPRBlocks: 2
; NumSGPRsForWavesPerEU: 30
; NumVGPRsForWavesPerEU: 21
; AccumOffset: 24
; Occupancy: 8
; WaveLimiterHint : 1
; COMPUTE_PGM_RSRC2:SCRATCH_EN: 0
; COMPUTE_PGM_RSRC2:USER_SGPR: 6
; COMPUTE_PGM_RSRC2:TRAP_HANDLER: 0
; COMPUTE_PGM_RSRC2:TGID_X_EN: 1
; COMPUTE_PGM_RSRC2:TGID_Y_EN: 0
; COMPUTE_PGM_RSRC2:TGID_Z_EN: 0
; COMPUTE_PGM_RSRC2:TIDIG_COMP_CNT: 0
; COMPUTE_PGM_RSRC3_GFX90A:ACCUM_OFFSET: 5
; COMPUTE_PGM_RSRC3_GFX90A:TG_SPLIT: 0
	.section	.text._ZN2at6native12_GLOBAL__N_115sum_and_scatterIN3c104HalfElEEvPKT0_PT_lS7_PKlPKNS_14AccumulateTypeIS8_Lb1EE4typeES7_SB_ll,"axG",@progbits,_ZN2at6native12_GLOBAL__N_115sum_and_scatterIN3c104HalfElEEvPKT0_PT_lS7_PKlPKNS_14AccumulateTypeIS8_Lb1EE4typeES7_SB_ll,comdat
	.globl	_ZN2at6native12_GLOBAL__N_115sum_and_scatterIN3c104HalfElEEvPKT0_PT_lS7_PKlPKNS_14AccumulateTypeIS8_Lb1EE4typeES7_SB_ll ; -- Begin function _ZN2at6native12_GLOBAL__N_115sum_and_scatterIN3c104HalfElEEvPKT0_PT_lS7_PKlPKNS_14AccumulateTypeIS8_Lb1EE4typeES7_SB_ll
	.p2align	8
	.type	_ZN2at6native12_GLOBAL__N_115sum_and_scatterIN3c104HalfElEEvPKT0_PT_lS7_PKlPKNS_14AccumulateTypeIS8_Lb1EE4typeES7_SB_ll,@function
_ZN2at6native12_GLOBAL__N_115sum_and_scatterIN3c104HalfElEEvPKT0_PT_lS7_PKlPKNS_14AccumulateTypeIS8_Lb1EE4typeES7_SB_ll: ; @_ZN2at6native12_GLOBAL__N_115sum_and_scatterIN3c104HalfElEEvPKT0_PT_lS7_PKlPKNS_14AccumulateTypeIS8_Lb1EE4typeES7_SB_ll
; %bb.0:
	s_load_dword s0, s[4:5], 0x5c
	s_load_dwordx4 s[24:27], s[4:5], 0x40
	s_load_dwordx16 s[8:23], s[4:5], 0x0
	v_mov_b32_e32 v1, 0
	v_mov_b32_e32 v2, s6
	s_waitcnt lgkmcnt(0)
	s_and_b32 s0, s0, 0xffff
	v_mad_u64_u32 v[2:3], s[0:1], s0, v2, v[0:1]
	v_or_b32_e32 v5, s27, v3
	v_mov_b32_e32 v4, v1
	v_cmp_ne_u64_e32 vcc, 0, v[4:5]
                                        ; implicit-def: $vgpr6_vgpr7
	s_and_saveexec_b64 s[0:1], vcc
	s_xor_b64 s[2:3], exec, s[0:1]
	s_cbranch_execz .LBB111_2
; %bb.1:
	s_ashr_i32 s4, s27, 31
	s_add_u32 s0, s26, s4
	s_mov_b32 s5, s4
	s_addc_u32 s1, s27, s4
	s_xor_b64 s[6:7], s[0:1], s[4:5]
	v_cvt_f32_u32_e32 v0, s6
	v_cvt_f32_u32_e32 v1, s7
	s_sub_u32 s0, 0, s6
	s_subb_u32 s1, 0, s7
	v_madmk_f32 v0, v1, 0x4f800000, v0
	v_rcp_f32_e32 v0, v0
	v_mul_f32_e32 v0, 0x5f7ffffc, v0
	v_mul_f32_e32 v1, 0x2f800000, v0
	v_trunc_f32_e32 v1, v1
	v_madmk_f32 v0, v1, 0xcf800000, v0
	v_cvt_u32_f32_e32 v1, v1
	v_cvt_u32_f32_e32 v0, v0
	v_mul_lo_u32 v4, s0, v1
	v_mul_hi_u32 v6, s0, v0
	v_mul_lo_u32 v5, s1, v0
	v_add_u32_e32 v4, v6, v4
	v_mul_lo_u32 v7, s0, v0
	v_add_u32_e32 v4, v4, v5
	v_mul_lo_u32 v6, v0, v4
	v_mul_hi_u32 v8, v0, v7
	v_mul_hi_u32 v5, v0, v4
	v_add_co_u32_e32 v6, vcc, v8, v6
	v_addc_co_u32_e32 v5, vcc, 0, v5, vcc
	v_mul_hi_u32 v9, v1, v7
	v_mul_lo_u32 v7, v1, v7
	v_add_co_u32_e32 v6, vcc, v6, v7
	v_mul_hi_u32 v8, v1, v4
	v_addc_co_u32_e32 v5, vcc, v5, v9, vcc
	v_addc_co_u32_e32 v6, vcc, 0, v8, vcc
	v_mul_lo_u32 v4, v1, v4
	v_add_co_u32_e32 v4, vcc, v5, v4
	v_addc_co_u32_e32 v5, vcc, 0, v6, vcc
	v_add_co_u32_e32 v0, vcc, v0, v4
	v_addc_co_u32_e32 v1, vcc, v1, v5, vcc
	v_mul_lo_u32 v4, s0, v1
	v_mul_hi_u32 v5, s0, v0
	v_add_u32_e32 v4, v5, v4
	v_mul_lo_u32 v5, s1, v0
	v_add_u32_e32 v4, v4, v5
	v_mul_lo_u32 v6, s0, v0
	v_mul_hi_u32 v7, v1, v6
	v_mul_lo_u32 v8, v1, v6
	v_mul_lo_u32 v10, v0, v4
	v_mul_hi_u32 v6, v0, v6
	v_mul_hi_u32 v9, v0, v4
	v_add_co_u32_e32 v6, vcc, v6, v10
	v_addc_co_u32_e32 v9, vcc, 0, v9, vcc
	v_add_co_u32_e32 v6, vcc, v6, v8
	v_mul_hi_u32 v5, v1, v4
	v_addc_co_u32_e32 v6, vcc, v9, v7, vcc
	v_addc_co_u32_e32 v5, vcc, 0, v5, vcc
	v_mul_lo_u32 v4, v1, v4
	v_add_co_u32_e32 v4, vcc, v6, v4
	v_addc_co_u32_e32 v5, vcc, 0, v5, vcc
	v_add_co_u32_e32 v4, vcc, v0, v4
	v_addc_co_u32_e32 v5, vcc, v1, v5, vcc
	v_ashrrev_i32_e32 v6, 31, v3
	v_add_co_u32_e32 v0, vcc, v2, v6
	v_addc_co_u32_e32 v1, vcc, v3, v6, vcc
	v_xor_b32_e32 v8, v0, v6
	v_xor_b32_e32 v7, v1, v6
	v_mad_u64_u32 v[0:1], s[0:1], v8, v5, 0
	v_mul_hi_u32 v9, v8, v4
	v_add_co_u32_e32 v9, vcc, v9, v0
	v_addc_co_u32_e32 v10, vcc, 0, v1, vcc
	v_mad_u64_u32 v[0:1], s[0:1], v7, v5, 0
	v_mad_u64_u32 v[4:5], s[0:1], v7, v4, 0
	v_add_co_u32_e32 v4, vcc, v9, v4
	v_addc_co_u32_e32 v4, vcc, v10, v5, vcc
	v_addc_co_u32_e32 v1, vcc, 0, v1, vcc
	v_add_co_u32_e32 v4, vcc, v4, v0
	v_addc_co_u32_e32 v5, vcc, 0, v1, vcc
	v_mul_lo_u32 v9, s7, v4
	v_mul_lo_u32 v10, s6, v5
	v_mad_u64_u32 v[0:1], s[0:1], s6, v4, 0
	v_add3_u32 v1, v1, v10, v9
	v_sub_u32_e32 v9, v7, v1
	v_mov_b32_e32 v10, s7
	v_sub_co_u32_e32 v0, vcc, v8, v0
	v_subb_co_u32_e64 v8, s[0:1], v9, v10, vcc
	v_subrev_co_u32_e64 v9, s[0:1], s6, v0
	v_subbrev_co_u32_e64 v8, s[0:1], 0, v8, s[0:1]
	v_cmp_le_u32_e64 s[0:1], s7, v8
	v_cndmask_b32_e64 v10, 0, -1, s[0:1]
	v_cmp_le_u32_e64 s[0:1], s6, v9
	v_cndmask_b32_e64 v9, 0, -1, s[0:1]
	v_cmp_eq_u32_e64 s[0:1], s7, v8
	v_cndmask_b32_e64 v8, v10, v9, s[0:1]
	v_add_co_u32_e64 v9, s[0:1], 2, v4
	v_subb_co_u32_e32 v1, vcc, v7, v1, vcc
	v_addc_co_u32_e64 v10, s[0:1], 0, v5, s[0:1]
	v_cmp_le_u32_e32 vcc, s7, v1
	v_add_co_u32_e64 v11, s[0:1], 1, v4
	v_cndmask_b32_e64 v7, 0, -1, vcc
	v_cmp_le_u32_e32 vcc, s6, v0
	v_addc_co_u32_e64 v12, s[0:1], 0, v5, s[0:1]
	v_cndmask_b32_e64 v0, 0, -1, vcc
	v_cmp_eq_u32_e32 vcc, s7, v1
	v_cmp_ne_u32_e64 s[0:1], 0, v8
	v_cndmask_b32_e32 v0, v7, v0, vcc
	v_cmp_ne_u32_e32 vcc, 0, v0
	v_cndmask_b32_e64 v1, v11, v9, s[0:1]
	v_cndmask_b32_e64 v8, v12, v10, s[0:1]
	v_cndmask_b32_e32 v1, v4, v1, vcc
	v_xor_b32_e32 v4, s4, v6
	v_cndmask_b32_e32 v0, v5, v8, vcc
	v_xor_b32_e32 v1, v1, v4
	v_xor_b32_e32 v0, v0, v4
	v_sub_co_u32_e32 v6, vcc, v1, v4
	v_subb_co_u32_e32 v7, vcc, v0, v4, vcc
.LBB111_2:
	s_or_saveexec_b64 s[0:1], s[2:3]
	s_load_dwordx2 s[2:3], s[16:17], 0x0
	s_xor_b64 exec, exec, s[0:1]
	s_cbranch_execz .LBB111_4
; %bb.3:
	v_cvt_f32_u32_e32 v0, s26
	s_sub_i32 s4, 0, s26
	v_mov_b32_e32 v7, 0
	v_rcp_iflag_f32_e32 v0, v0
	v_mul_f32_e32 v0, 0x4f7ffffe, v0
	v_cvt_u32_f32_e32 v0, v0
	v_mul_lo_u32 v1, s4, v0
	v_mul_hi_u32 v1, v0, v1
	v_add_u32_e32 v0, v0, v1
	v_mul_hi_u32 v0, v2, v0
	v_mul_lo_u32 v1, v0, s26
	v_sub_u32_e32 v1, v2, v1
	v_add_u32_e32 v4, 1, v0
	v_subrev_u32_e32 v5, s26, v1
	v_cmp_le_u32_e32 vcc, s26, v1
	v_cndmask_b32_e32 v1, v1, v5, vcc
	v_cndmask_b32_e32 v0, v0, v4, vcc
	v_add_u32_e32 v4, 1, v0
	v_cmp_le_u32_e32 vcc, s26, v1
	v_cndmask_b32_e32 v6, v0, v4, vcc
.LBB111_4:
	s_or_b64 exec, exec, s[0:1]
	v_mul_lo_u32 v0, v7, s26
	v_mul_lo_u32 v1, v6, s27
	v_mad_u64_u32 v[8:9], s[0:1], v6, s26, 0
	v_add3_u32 v9, v9, v1, v0
	v_sub_co_u32_e32 v0, vcc, v2, v8
	v_subb_co_u32_e32 v1, vcc, v3, v9, vcc
	v_cmp_gt_i64_e32 vcc, s[12:13], v[0:1]
	s_waitcnt lgkmcnt(0)
	v_cmp_gt_i64_e64 s[0:1], s[2:3], v[6:7]
	s_and_b64 s[0:1], vcc, s[0:1]
	s_and_saveexec_b64 s[4:5], s[0:1]
	s_cbranch_execz .LBB111_11
; %bb.5:
	v_lshlrev_b64 v[4:5], 3, v[6:7]
	v_mov_b32_e32 v10, s21
	v_add_co_u32_e32 v12, vcc, s20, v4
	v_addc_co_u32_e32 v13, vcc, v10, v5, vcc
	s_add_u32 s0, s2, -1
	v_add_co_u32_e32 v11, vcc, 8, v12
	global_load_dword v10, v[12:13], off
	s_addc_u32 s1, s3, -1
	v_addc_co_u32_e32 v12, vcc, 0, v13, vcc
	v_mov_b32_e32 v13, s23
	v_cmp_eq_u64_e32 vcc, s[0:1], v[6:7]
	v_mov_b32_e32 v6, s22
	v_cndmask_b32_e32 v7, v12, v13, vcc
	v_cndmask_b32_e32 v6, v11, v6, vcc
	global_load_dword v6, v[6:7], off
	v_mov_b32_e32 v7, 0
	s_waitcnt vmcnt(0)
	v_cmp_lt_i32_e32 vcc, v10, v6
	s_and_saveexec_b64 s[0:1], vcc
	s_cbranch_execz .LBB111_9
; %bb.6:
	v_ashrrev_i32_e32 v7, 31, v10
	v_mul_lo_u32 v11, s13, v10
	v_mul_lo_u32 v7, s12, v7
	v_mad_u64_u32 v[12:13], s[2:3], s12, v10, 0
	v_add3_u32 v13, v13, v7, v11
	v_lshlrev_b64 v[12:13], 2, v[12:13]
	v_lshlrev_b64 v[2:3], 2, v[2:3]
	v_add_co_u32_e32 v7, vcc, v12, v2
	v_addc_co_u32_e32 v11, vcc, v13, v3, vcc
	v_lshlrev_b64 v[2:3], 2, v[8:9]
	v_sub_co_u32_e32 v2, vcc, v7, v2
	v_subb_co_u32_e32 v3, vcc, v11, v3, vcc
	v_mov_b32_e32 v7, s19
	v_add_co_u32_e32 v2, vcc, s18, v2
	s_lshl_b64 s[4:5], s[12:13], 2
	v_addc_co_u32_e32 v3, vcc, v7, v3, vcc
	s_mov_b64 s[2:3], 0
	v_mov_b32_e32 v7, 0
	v_mov_b32_e32 v8, s5
.LBB111_7:                              ; =>This Inner Loop Header: Depth=1
	global_load_dword v9, v[2:3], off
	v_add_co_u32_e32 v2, vcc, s4, v2
	v_add_u32_e32 v10, 1, v10
	v_addc_co_u32_e32 v3, vcc, v3, v8, vcc
	v_cmp_ge_i32_e32 vcc, v10, v6
	s_or_b64 s[2:3], vcc, s[2:3]
	s_waitcnt vmcnt(0)
	v_add_f32_e32 v7, v7, v9
	s_andn2_b64 exec, exec, s[2:3]
	s_cbranch_execnz .LBB111_7
; %bb.8:
	s_or_b64 exec, exec, s[2:3]
	v_cvt_f16_f32_e32 v7, v7
.LBB111_9:
	s_or_b64 exec, exec, s[0:1]
	v_mov_b32_e32 v3, s15
	v_add_co_u32_e32 v2, vcc, s14, v4
	v_addc_co_u32_e32 v3, vcc, v3, v5, vcc
	global_load_dwordx2 v[2:3], v[2:3], off
	v_mov_b32_e32 v4, s9
	s_waitcnt vmcnt(0)
	v_lshlrev_b64 v[2:3], 3, v[2:3]
	v_add_co_u32_e32 v2, vcc, s8, v2
	v_addc_co_u32_e32 v3, vcc, v4, v3, vcc
	global_load_dwordx2 v[2:3], v[2:3], off
	s_waitcnt vmcnt(0)
	v_cmp_ne_u64_e32 vcc, s[24:25], v[2:3]
	s_and_b64 exec, exec, vcc
	s_cbranch_execz .LBB111_11
; %bb.10:
	v_mul_lo_u32 v4, v3, s12
	v_mul_lo_u32 v5, v2, s13
	v_mad_u64_u32 v[2:3], s[0:1], v2, s12, 0
	v_add3_u32 v3, v3, v5, v4
	v_lshlrev_b64 v[2:3], 1, v[2:3]
	v_mov_b32_e32 v4, s11
	v_add_co_u32_e32 v2, vcc, s10, v2
	v_addc_co_u32_e32 v3, vcc, v4, v3, vcc
	v_lshlrev_b64 v[0:1], 1, v[0:1]
	v_add_co_u32_e32 v0, vcc, v2, v0
	v_addc_co_u32_e32 v1, vcc, v3, v1, vcc
	global_store_short v[0:1], v7, off
.LBB111_11:
	s_endpgm
	.section	.rodata,"a",@progbits
	.p2align	6, 0x0
	.amdhsa_kernel _ZN2at6native12_GLOBAL__N_115sum_and_scatterIN3c104HalfElEEvPKT0_PT_lS7_PKlPKNS_14AccumulateTypeIS8_Lb1EE4typeES7_SB_ll
		.amdhsa_group_segment_fixed_size 0
		.amdhsa_private_segment_fixed_size 0
		.amdhsa_kernarg_size 336
		.amdhsa_user_sgpr_count 6
		.amdhsa_user_sgpr_private_segment_buffer 1
		.amdhsa_user_sgpr_dispatch_ptr 0
		.amdhsa_user_sgpr_queue_ptr 0
		.amdhsa_user_sgpr_kernarg_segment_ptr 1
		.amdhsa_user_sgpr_dispatch_id 0
		.amdhsa_user_sgpr_flat_scratch_init 0
		.amdhsa_user_sgpr_kernarg_preload_length 0
		.amdhsa_user_sgpr_kernarg_preload_offset 0
		.amdhsa_user_sgpr_private_segment_size 0
		.amdhsa_uses_dynamic_stack 0
		.amdhsa_system_sgpr_private_segment_wavefront_offset 0
		.amdhsa_system_sgpr_workgroup_id_x 1
		.amdhsa_system_sgpr_workgroup_id_y 0
		.amdhsa_system_sgpr_workgroup_id_z 0
		.amdhsa_system_sgpr_workgroup_info 0
		.amdhsa_system_vgpr_workitem_id 0
		.amdhsa_next_free_vgpr 14
		.amdhsa_next_free_sgpr 28
		.amdhsa_accum_offset 16
		.amdhsa_reserve_vcc 1
		.amdhsa_reserve_flat_scratch 0
		.amdhsa_float_round_mode_32 0
		.amdhsa_float_round_mode_16_64 0
		.amdhsa_float_denorm_mode_32 3
		.amdhsa_float_denorm_mode_16_64 3
		.amdhsa_dx10_clamp 1
		.amdhsa_ieee_mode 1
		.amdhsa_fp16_overflow 0
		.amdhsa_tg_split 0
		.amdhsa_exception_fp_ieee_invalid_op 0
		.amdhsa_exception_fp_denorm_src 0
		.amdhsa_exception_fp_ieee_div_zero 0
		.amdhsa_exception_fp_ieee_overflow 0
		.amdhsa_exception_fp_ieee_underflow 0
		.amdhsa_exception_fp_ieee_inexact 0
		.amdhsa_exception_int_div_zero 0
	.end_amdhsa_kernel
	.section	.text._ZN2at6native12_GLOBAL__N_115sum_and_scatterIN3c104HalfElEEvPKT0_PT_lS7_PKlPKNS_14AccumulateTypeIS8_Lb1EE4typeES7_SB_ll,"axG",@progbits,_ZN2at6native12_GLOBAL__N_115sum_and_scatterIN3c104HalfElEEvPKT0_PT_lS7_PKlPKNS_14AccumulateTypeIS8_Lb1EE4typeES7_SB_ll,comdat
.Lfunc_end111:
	.size	_ZN2at6native12_GLOBAL__N_115sum_and_scatterIN3c104HalfElEEvPKT0_PT_lS7_PKlPKNS_14AccumulateTypeIS8_Lb1EE4typeES7_SB_ll, .Lfunc_end111-_ZN2at6native12_GLOBAL__N_115sum_and_scatterIN3c104HalfElEEvPKT0_PT_lS7_PKlPKNS_14AccumulateTypeIS8_Lb1EE4typeES7_SB_ll
                                        ; -- End function
	.section	.AMDGPU.csdata,"",@progbits
; Kernel info:
; codeLenInByte = 1344
; NumSgprs: 32
; NumVgprs: 14
; NumAgprs: 0
; TotalNumVgprs: 14
; ScratchSize: 0
; MemoryBound: 0
; FloatMode: 240
; IeeeMode: 1
; LDSByteSize: 0 bytes/workgroup (compile time only)
; SGPRBlocks: 3
; VGPRBlocks: 1
; NumSGPRsForWavesPerEU: 32
; NumVGPRsForWavesPerEU: 14
; AccumOffset: 16
; Occupancy: 8
; WaveLimiterHint : 1
; COMPUTE_PGM_RSRC2:SCRATCH_EN: 0
; COMPUTE_PGM_RSRC2:USER_SGPR: 6
; COMPUTE_PGM_RSRC2:TRAP_HANDLER: 0
; COMPUTE_PGM_RSRC2:TGID_X_EN: 1
; COMPUTE_PGM_RSRC2:TGID_Y_EN: 0
; COMPUTE_PGM_RSRC2:TGID_Z_EN: 0
; COMPUTE_PGM_RSRC2:TIDIG_COMP_CNT: 0
; COMPUTE_PGM_RSRC3_GFX90A:ACCUM_OFFSET: 3
; COMPUTE_PGM_RSRC3_GFX90A:TG_SPLIT: 0
	.section	.text._ZN2at6native12_GLOBAL__N_137compute_grad_weight_atomic_accumulateIN3c108BFloat16EflEEvPKT1_PKT_S7_llS7_PKlS7_S7_S7_PT0_ll,"axG",@progbits,_ZN2at6native12_GLOBAL__N_137compute_grad_weight_atomic_accumulateIN3c108BFloat16EflEEvPKT1_PKT_S7_llS7_PKlS7_S7_S7_PT0_ll,comdat
	.globl	_ZN2at6native12_GLOBAL__N_137compute_grad_weight_atomic_accumulateIN3c108BFloat16EflEEvPKT1_PKT_S7_llS7_PKlS7_S7_S7_PT0_ll ; -- Begin function _ZN2at6native12_GLOBAL__N_137compute_grad_weight_atomic_accumulateIN3c108BFloat16EflEEvPKT1_PKT_S7_llS7_PKlS7_S7_S7_PT0_ll
	.p2align	8
	.type	_ZN2at6native12_GLOBAL__N_137compute_grad_weight_atomic_accumulateIN3c108BFloat16EflEEvPKT1_PKT_S7_llS7_PKlS7_S7_S7_PT0_ll,@function
_ZN2at6native12_GLOBAL__N_137compute_grad_weight_atomic_accumulateIN3c108BFloat16EflEEvPKT1_PKT_S7_llS7_PKlS7_S7_S7_PT0_ll: ; @_ZN2at6native12_GLOBAL__N_137compute_grad_weight_atomic_accumulateIN3c108BFloat16EflEEvPKT1_PKT_S7_llS7_PKlS7_S7_S7_PT0_ll
; %bb.0:
	s_load_dword s0, s[4:5], 0x74
	s_load_dwordx2 s[2:3], s[4:5], 0x60
	v_mov_b32_e32 v2, 0
                                        ; implicit-def: $vgpr8_vgpr9
	s_waitcnt lgkmcnt(0)
	s_and_b32 s0, s0, 0xffff
	s_mul_i32 s6, s6, s0
	v_add_u32_e32 v0, s6, v0
	v_ashrrev_i32_e32 v1, 31, v0
	v_or_b32_e32 v3, s3, v1
	v_cmp_ne_u64_e32 vcc, 0, v[2:3]
	s_and_saveexec_b64 s[0:1], vcc
	s_xor_b64 s[6:7], exec, s[0:1]
	s_cbranch_execz .LBB112_2
; %bb.1:
	s_ashr_i32 s8, s3, 31
	s_add_u32 s0, s2, s8
	s_mov_b32 s9, s8
	s_addc_u32 s1, s3, s8
	s_xor_b64 s[10:11], s[0:1], s[8:9]
	v_cvt_f32_u32_e32 v2, s10
	v_cvt_f32_u32_e32 v3, s11
	s_sub_u32 s0, 0, s10
	s_subb_u32 s1, 0, s11
	v_madmk_f32 v2, v3, 0x4f800000, v2
	v_rcp_f32_e32 v2, v2
	v_mul_f32_e32 v2, 0x5f7ffffc, v2
	v_mul_f32_e32 v3, 0x2f800000, v2
	v_trunc_f32_e32 v3, v3
	v_madmk_f32 v2, v3, 0xcf800000, v2
	v_cvt_u32_f32_e32 v3, v3
	v_cvt_u32_f32_e32 v2, v2
	v_mul_lo_u32 v4, s0, v3
	v_mul_hi_u32 v6, s0, v2
	v_mul_lo_u32 v5, s1, v2
	v_add_u32_e32 v4, v6, v4
	v_mul_lo_u32 v7, s0, v2
	v_add_u32_e32 v4, v4, v5
	v_mul_lo_u32 v6, v2, v4
	v_mul_hi_u32 v8, v2, v7
	v_mul_hi_u32 v5, v2, v4
	v_add_co_u32_e32 v6, vcc, v8, v6
	v_addc_co_u32_e32 v5, vcc, 0, v5, vcc
	v_mul_hi_u32 v9, v3, v7
	v_mul_lo_u32 v7, v3, v7
	v_add_co_u32_e32 v6, vcc, v6, v7
	v_mul_hi_u32 v8, v3, v4
	v_addc_co_u32_e32 v5, vcc, v5, v9, vcc
	v_addc_co_u32_e32 v6, vcc, 0, v8, vcc
	v_mul_lo_u32 v4, v3, v4
	v_add_co_u32_e32 v4, vcc, v5, v4
	v_addc_co_u32_e32 v5, vcc, 0, v6, vcc
	v_add_co_u32_e32 v2, vcc, v2, v4
	v_addc_co_u32_e32 v3, vcc, v3, v5, vcc
	v_mul_lo_u32 v4, s0, v3
	v_mul_hi_u32 v5, s0, v2
	v_add_u32_e32 v4, v5, v4
	v_mul_lo_u32 v5, s1, v2
	v_add_u32_e32 v4, v4, v5
	v_mul_lo_u32 v6, s0, v2
	v_mul_hi_u32 v7, v3, v6
	v_mul_lo_u32 v8, v3, v6
	v_mul_lo_u32 v10, v2, v4
	v_mul_hi_u32 v6, v2, v6
	v_mul_hi_u32 v9, v2, v4
	v_add_co_u32_e32 v6, vcc, v6, v10
	v_addc_co_u32_e32 v9, vcc, 0, v9, vcc
	v_add_co_u32_e32 v6, vcc, v6, v8
	v_mul_hi_u32 v5, v3, v4
	v_addc_co_u32_e32 v6, vcc, v9, v7, vcc
	v_addc_co_u32_e32 v5, vcc, 0, v5, vcc
	v_mul_lo_u32 v4, v3, v4
	v_add_co_u32_e32 v4, vcc, v6, v4
	v_addc_co_u32_e32 v5, vcc, 0, v5, vcc
	v_add_co_u32_e32 v6, vcc, v2, v4
	v_addc_co_u32_e32 v7, vcc, v3, v5, vcc
	v_mov_b32_e32 v2, v1
	v_mov_b32_e32 v3, v1
	v_add_co_u32_e32 v4, vcc, v0, v2
	v_addc_co_u32_e32 v5, vcc, v1, v3, vcc
	v_xor_b32_e32 v9, v4, v2
	v_xor_b32_e32 v8, v5, v3
	v_mad_u64_u32 v[4:5], s[0:1], v9, v7, 0
	v_mul_hi_u32 v10, v9, v6
	v_add_co_u32_e32 v10, vcc, v10, v4
	v_addc_co_u32_e32 v11, vcc, 0, v5, vcc
	v_mad_u64_u32 v[4:5], s[0:1], v8, v7, 0
	v_mad_u64_u32 v[6:7], s[0:1], v8, v6, 0
	v_add_co_u32_e32 v6, vcc, v10, v6
	v_addc_co_u32_e32 v6, vcc, v11, v7, vcc
	v_addc_co_u32_e32 v5, vcc, 0, v5, vcc
	v_add_co_u32_e32 v6, vcc, v6, v4
	v_addc_co_u32_e32 v7, vcc, 0, v5, vcc
	v_mul_lo_u32 v10, s11, v6
	v_mul_lo_u32 v11, s10, v7
	v_mad_u64_u32 v[4:5], s[0:1], s10, v6, 0
	v_add3_u32 v5, v5, v11, v10
	v_sub_u32_e32 v10, v8, v5
	v_mov_b32_e32 v11, s11
	v_sub_co_u32_e32 v4, vcc, v9, v4
	v_subb_co_u32_e64 v9, s[0:1], v10, v11, vcc
	v_subrev_co_u32_e64 v10, s[0:1], s10, v4
	v_subbrev_co_u32_e64 v9, s[0:1], 0, v9, s[0:1]
	v_cmp_le_u32_e64 s[0:1], s11, v9
	v_cndmask_b32_e64 v11, 0, -1, s[0:1]
	v_cmp_le_u32_e64 s[0:1], s10, v10
	v_cndmask_b32_e64 v10, 0, -1, s[0:1]
	v_cmp_eq_u32_e64 s[0:1], s11, v9
	v_cndmask_b32_e64 v9, v11, v10, s[0:1]
	v_add_co_u32_e64 v10, s[0:1], 2, v6
	v_subb_co_u32_e32 v5, vcc, v8, v5, vcc
	v_addc_co_u32_e64 v11, s[0:1], 0, v7, s[0:1]
	v_cmp_le_u32_e32 vcc, s11, v5
	v_add_co_u32_e64 v12, s[0:1], 1, v6
	v_cndmask_b32_e64 v8, 0, -1, vcc
	v_cmp_le_u32_e32 vcc, s10, v4
	v_addc_co_u32_e64 v13, s[0:1], 0, v7, s[0:1]
	v_cndmask_b32_e64 v4, 0, -1, vcc
	v_cmp_eq_u32_e32 vcc, s11, v5
	v_cmp_ne_u32_e64 s[0:1], 0, v9
	v_cndmask_b32_e32 v4, v8, v4, vcc
	v_cmp_ne_u32_e32 vcc, 0, v4
	v_cndmask_b32_e64 v5, v12, v10, s[0:1]
	v_cndmask_b32_e64 v9, v13, v11, s[0:1]
	v_cndmask_b32_e32 v5, v6, v5, vcc
	v_xor_b32_e32 v2, s8, v2
	v_cndmask_b32_e32 v4, v7, v9, vcc
	v_xor_b32_e32 v3, s8, v3
	v_xor_b32_e32 v5, v5, v2
	v_xor_b32_e32 v4, v4, v3
	v_sub_co_u32_e32 v8, vcc, v5, v2
	v_subb_co_u32_e32 v9, vcc, v4, v3, vcc
.LBB112_2:
	s_or_saveexec_b64 s[0:1], s[6:7]
	s_load_dwordx16 s[8:23], s[4:5], 0x0
	s_xor_b64 exec, exec, s[0:1]
	s_cbranch_execz .LBB112_4
; %bb.3:
	v_cvt_f32_u32_e32 v2, s2
	s_sub_i32 s6, 0, s2
	v_mov_b32_e32 v9, 0
	v_rcp_iflag_f32_e32 v2, v2
	v_mul_f32_e32 v2, 0x4f7ffffe, v2
	v_cvt_u32_f32_e32 v2, v2
	v_mul_lo_u32 v3, s6, v2
	v_mul_hi_u32 v3, v2, v3
	v_add_u32_e32 v2, v2, v3
	v_mul_hi_u32 v2, v0, v2
	v_mul_lo_u32 v3, v2, s2
	v_sub_u32_e32 v3, v0, v3
	v_add_u32_e32 v4, 1, v2
	v_subrev_u32_e32 v5, s2, v3
	v_cmp_le_u32_e32 vcc, s2, v3
	v_cndmask_b32_e32 v3, v3, v5, vcc
	v_cndmask_b32_e32 v2, v2, v4, vcc
	v_add_u32_e32 v4, 1, v2
	v_cmp_le_u32_e32 vcc, s2, v3
	v_cndmask_b32_e32 v8, v2, v4, vcc
.LBB112_4:
	s_or_b64 exec, exec, s[0:1]
	v_mul_lo_u32 v4, v9, s2
	v_mul_lo_u32 v5, v8, s3
	v_mad_u64_u32 v[2:3], s[0:1], v8, s2, 0
	v_add3_u32 v3, v3, v5, v4
	v_sub_co_u32_e32 v0, vcc, v0, v2
	v_subb_co_u32_e32 v1, vcc, v1, v3, vcc
	s_waitcnt lgkmcnt(0)
	v_cmp_gt_i64_e32 vcc, s[16:17], v[0:1]
	s_and_saveexec_b64 s[0:1], vcc
	s_cbranch_execz .LBB112_17
; %bb.5:
	s_load_dwordx2 s[0:1], s[20:21], 0x0
	v_ashrrev_i32_e32 v9, 31, v8
	s_waitcnt lgkmcnt(0)
	v_cmp_gt_i64_e32 vcc, s[0:1], v[8:9]
	s_and_b64 exec, exec, vcc
	s_cbranch_execz .LBB112_17
; %bb.6:
	v_lshlrev_b64 v[2:3], 3, v[8:9]
	v_mov_b32_e32 v5, s19
	v_add_co_u32_e32 v4, vcc, s18, v2
	v_addc_co_u32_e32 v5, vcc, v5, v3, vcc
	global_load_dwordx2 v[4:5], v[4:5], off
	s_load_dwordx8 s[24:31], s[4:5], 0x40
	s_add_u32 s0, s0, -1
	s_addc_u32 s1, s1, -1
	v_cmp_ne_u64_e32 vcc, s[0:1], v[8:9]
	v_pk_mov_b32 v[6:7], s[14:15], s[14:15] op_sel:[0,1]
	s_and_saveexec_b64 s[0:1], vcc
	s_cbranch_execz .LBB112_8
; %bb.7:
	v_mov_b32_e32 v7, v8
	v_add_co_u32_e64 v6, vcc, 0, 0
	v_addc_co_u32_e32 v7, vcc, 1, v7, vcc
	v_ashrrev_i64 v[6:7], 29, v[6:7]
	v_mov_b32_e32 v8, s19
	v_add_co_u32_e32 v6, vcc, s18, v6
	v_addc_co_u32_e32 v7, vcc, v8, v7, vcc
	global_load_dwordx2 v[6:7], v[6:7], off
.LBB112_8:
	s_or_b64 exec, exec, s[0:1]
	s_waitcnt vmcnt(0)
	v_cmp_lt_i64_e32 vcc, v[4:5], v[6:7]
	v_mov_b32_e32 v14, 0
	s_and_saveexec_b64 s[2:3], vcc
	s_cbranch_execz .LBB112_15
; %bb.9:
	v_lshlrev_b64 v[8:9], 1, v[0:1]
	v_mov_b32_e32 v10, s11
	v_add_co_u32_e32 v15, vcc, s10, v8
	v_addc_co_u32_e32 v16, vcc, v10, v9, vcc
	v_lshlrev_b64 v[10:11], 3, v[4:5]
	v_mov_b32_e32 v9, s13
	v_add_co_u32_e32 v8, vcc, s12, v10
	s_cmp_lg_u64 s[12:13], 0
	v_addc_co_u32_e32 v9, vcc, v9, v11, vcc
	v_mov_b32_e32 v12, s9
	v_add_co_u32_e32 v10, vcc, s8, v10
	s_cselect_b64 s[0:1], -1, 0
	v_addc_co_u32_e32 v11, vcc, v12, v11, vcc
	v_cndmask_b32_e64 v12, 0, 1, s[0:1]
	s_mov_b64 s[4:5], 0
	v_mov_b32_e32 v14, 0
	v_cmp_ne_u32_e64 s[0:1], 1, v12
	s_branch .LBB112_12
.LBB112_10:                             ;   in Loop: Header=BB112_12 Depth=1
	global_load_dwordx2 v[18:19], v[8:9], off
	s_waitcnt vmcnt(0)
	v_xor_b32_e32 v20, v18, v19
	v_ffbh_i32_e32 v17, v19
	v_ashrrev_i32_e32 v20, 31, v20
	v_add_u32_e32 v17, -1, v17
	v_add_u32_e32 v20, 32, v20
	v_min_u32_e32 v17, v17, v20
	v_lshlrev_b64 v[18:19], v17, v[18:19]
	v_min_u32_e32 v18, 1, v18
	v_or_b32_e32 v18, v19, v18
	v_cvt_f32_i32_e32 v18, v18
	v_sub_u32_e32 v17, 32, v17
	v_ldexp_f32 v17, v18, v17
	v_div_scale_f32 v18, s[6:7], v17, v17, 1.0
	v_rcp_f32_e32 v19, v18
	v_div_scale_f32 v20, vcc, 1.0, v17, 1.0
	v_fma_f32 v21, -v18, v19, 1.0
	v_fmac_f32_e32 v19, v21, v19
	v_mul_f32_e32 v21, v20, v19
	v_fma_f32 v22, -v18, v21, v20
	v_fmac_f32_e32 v21, v22, v19
	v_fma_f32 v18, -v18, v21, v20
	v_div_fmas_f32 v18, v18, v19, v21
	v_div_fixup_f32 v17, v18, v17, 1.0
.LBB112_11:                             ;   in Loop: Header=BB112_12 Depth=1
	s_waitcnt vmcnt(0)
	v_mul_lo_u32 v18, v13, s16
	v_mul_lo_u32 v19, v12, s17
	v_mad_u64_u32 v[12:13], s[6:7], v12, s16, 0
	v_add3_u32 v13, v13, v19, v18
	v_lshlrev_b64 v[12:13], 1, v[12:13]
	v_add_co_u32_e32 v12, vcc, v15, v12
	v_addc_co_u32_e32 v13, vcc, v16, v13, vcc
	global_load_ushort v12, v[12:13], off
	v_add_co_u32_e32 v4, vcc, 1, v4
	v_addc_co_u32_e32 v5, vcc, 0, v5, vcc
	v_add_co_u32_e32 v8, vcc, 8, v8
	v_addc_co_u32_e32 v9, vcc, 0, v9, vcc
	v_cmp_ge_i64_e32 vcc, v[4:5], v[6:7]
	s_or_b64 s[4:5], vcc, s[4:5]
	v_add_co_u32_e32 v10, vcc, 8, v10
	v_addc_co_u32_e32 v11, vcc, 0, v11, vcc
	s_waitcnt vmcnt(0)
	v_lshlrev_b32_e32 v12, 16, v12
	v_fmac_f32_e32 v14, v17, v12
	s_andn2_b64 exec, exec, s[4:5]
	s_cbranch_execz .LBB112_14
.LBB112_12:                             ; =>This Inner Loop Header: Depth=1
	global_load_dwordx2 v[12:13], v[10:11], off
	s_and_b64 vcc, exec, s[0:1]
	s_cbranch_vccz .LBB112_10
; %bb.13:                               ;   in Loop: Header=BB112_12 Depth=1
	v_mov_b32_e32 v17, 1.0
	s_branch .LBB112_11
.LBB112_14:
	s_or_b64 exec, exec, s[4:5]
.LBB112_15:
	s_or_b64 exec, exec, s[2:3]
	s_waitcnt lgkmcnt(0)
	v_mov_b32_e32 v4, s25
	v_add_co_u32_e32 v2, vcc, s24, v2
	v_addc_co_u32_e32 v3, vcc, v4, v3, vcc
	global_load_dwordx2 v[2:3], v[2:3], off
	v_mov_b32_e32 v4, s27
	s_waitcnt vmcnt(0)
	v_lshlrev_b64 v[2:3], 3, v[2:3]
	v_add_co_u32_e32 v2, vcc, s26, v2
	v_addc_co_u32_e32 v3, vcc, v4, v3, vcc
	global_load_dwordx2 v[2:3], v[2:3], off
	v_mov_b32_e32 v4, s23
	s_waitcnt vmcnt(0)
	v_lshlrev_b64 v[2:3], 3, v[2:3]
	v_add_co_u32_e32 v2, vcc, s22, v2
	v_addc_co_u32_e32 v3, vcc, v4, v3, vcc
	global_load_dwordx2 v[2:3], v[2:3], off
	s_waitcnt vmcnt(0)
	v_cmp_ne_u64_e32 vcc, s[30:31], v[2:3]
	s_and_b64 exec, exec, vcc
	s_cbranch_execz .LBB112_17
; %bb.16:
	v_mul_lo_u32 v4, v3, s16
	v_mul_lo_u32 v5, v2, s17
	v_mad_u64_u32 v[2:3], s[0:1], v2, s16, 0
	v_add3_u32 v3, v3, v5, v4
	v_lshlrev_b64 v[2:3], 2, v[2:3]
	v_mov_b32_e32 v4, s29
	v_add_co_u32_e32 v2, vcc, s28, v2
	v_addc_co_u32_e32 v3, vcc, v4, v3, vcc
	v_lshlrev_b64 v[0:1], 2, v[0:1]
	v_add_co_u32_e32 v0, vcc, v2, v0
	v_addc_co_u32_e32 v1, vcc, v3, v1, vcc
	global_atomic_add_f32 v[0:1], v14, off
.LBB112_17:
	s_endpgm
	.section	.rodata,"a",@progbits
	.p2align	6, 0x0
	.amdhsa_kernel _ZN2at6native12_GLOBAL__N_137compute_grad_weight_atomic_accumulateIN3c108BFloat16EflEEvPKT1_PKT_S7_llS7_PKlS7_S7_S7_PT0_ll
		.amdhsa_group_segment_fixed_size 0
		.amdhsa_private_segment_fixed_size 0
		.amdhsa_kernarg_size 360
		.amdhsa_user_sgpr_count 6
		.amdhsa_user_sgpr_private_segment_buffer 1
		.amdhsa_user_sgpr_dispatch_ptr 0
		.amdhsa_user_sgpr_queue_ptr 0
		.amdhsa_user_sgpr_kernarg_segment_ptr 1
		.amdhsa_user_sgpr_dispatch_id 0
		.amdhsa_user_sgpr_flat_scratch_init 0
		.amdhsa_user_sgpr_kernarg_preload_length 0
		.amdhsa_user_sgpr_kernarg_preload_offset 0
		.amdhsa_user_sgpr_private_segment_size 0
		.amdhsa_uses_dynamic_stack 0
		.amdhsa_system_sgpr_private_segment_wavefront_offset 0
		.amdhsa_system_sgpr_workgroup_id_x 1
		.amdhsa_system_sgpr_workgroup_id_y 0
		.amdhsa_system_sgpr_workgroup_id_z 0
		.amdhsa_system_sgpr_workgroup_info 0
		.amdhsa_system_vgpr_workitem_id 0
		.amdhsa_next_free_vgpr 23
		.amdhsa_next_free_sgpr 32
		.amdhsa_accum_offset 24
		.amdhsa_reserve_vcc 1
		.amdhsa_reserve_flat_scratch 0
		.amdhsa_float_round_mode_32 0
		.amdhsa_float_round_mode_16_64 0
		.amdhsa_float_denorm_mode_32 3
		.amdhsa_float_denorm_mode_16_64 3
		.amdhsa_dx10_clamp 1
		.amdhsa_ieee_mode 1
		.amdhsa_fp16_overflow 0
		.amdhsa_tg_split 0
		.amdhsa_exception_fp_ieee_invalid_op 0
		.amdhsa_exception_fp_denorm_src 0
		.amdhsa_exception_fp_ieee_div_zero 0
		.amdhsa_exception_fp_ieee_overflow 0
		.amdhsa_exception_fp_ieee_underflow 0
		.amdhsa_exception_fp_ieee_inexact 0
		.amdhsa_exception_int_div_zero 0
	.end_amdhsa_kernel
	.section	.text._ZN2at6native12_GLOBAL__N_137compute_grad_weight_atomic_accumulateIN3c108BFloat16EflEEvPKT1_PKT_S7_llS7_PKlS7_S7_S7_PT0_ll,"axG",@progbits,_ZN2at6native12_GLOBAL__N_137compute_grad_weight_atomic_accumulateIN3c108BFloat16EflEEvPKT1_PKT_S7_llS7_PKlS7_S7_S7_PT0_ll,comdat
.Lfunc_end112:
	.size	_ZN2at6native12_GLOBAL__N_137compute_grad_weight_atomic_accumulateIN3c108BFloat16EflEEvPKT1_PKT_S7_llS7_PKlS7_S7_S7_PT0_ll, .Lfunc_end112-_ZN2at6native12_GLOBAL__N_137compute_grad_weight_atomic_accumulateIN3c108BFloat16EflEEvPKT1_PKT_S7_llS7_PKlS7_S7_S7_PT0_ll
                                        ; -- End function
	.section	.AMDGPU.csdata,"",@progbits
; Kernel info:
; codeLenInByte = 1644
; NumSgprs: 36
; NumVgprs: 23
; NumAgprs: 0
; TotalNumVgprs: 23
; ScratchSize: 0
; MemoryBound: 0
; FloatMode: 240
; IeeeMode: 1
; LDSByteSize: 0 bytes/workgroup (compile time only)
; SGPRBlocks: 4
; VGPRBlocks: 2
; NumSGPRsForWavesPerEU: 36
; NumVGPRsForWavesPerEU: 23
; AccumOffset: 24
; Occupancy: 8
; WaveLimiterHint : 1
; COMPUTE_PGM_RSRC2:SCRATCH_EN: 0
; COMPUTE_PGM_RSRC2:USER_SGPR: 6
; COMPUTE_PGM_RSRC2:TRAP_HANDLER: 0
; COMPUTE_PGM_RSRC2:TGID_X_EN: 1
; COMPUTE_PGM_RSRC2:TGID_Y_EN: 0
; COMPUTE_PGM_RSRC2:TGID_Z_EN: 0
; COMPUTE_PGM_RSRC2:TIDIG_COMP_CNT: 0
; COMPUTE_PGM_RSRC3_GFX90A:ACCUM_OFFSET: 5
; COMPUTE_PGM_RSRC3_GFX90A:TG_SPLIT: 0
	.section	.text._ZN2at6native12_GLOBAL__N_124compute_grad_weight_bagsIN3c108BFloat16ElEEvPKT0_PKT_S7_S7_lliS7_SA_lS7_PKlPNS_14AccumulateTypeIS8_Lb1EE4typeEl,"axG",@progbits,_ZN2at6native12_GLOBAL__N_124compute_grad_weight_bagsIN3c108BFloat16ElEEvPKT0_PKT_S7_S7_lliS7_SA_lS7_PKlPNS_14AccumulateTypeIS8_Lb1EE4typeEl,comdat
	.globl	_ZN2at6native12_GLOBAL__N_124compute_grad_weight_bagsIN3c108BFloat16ElEEvPKT0_PKT_S7_S7_lliS7_SA_lS7_PKlPNS_14AccumulateTypeIS8_Lb1EE4typeEl ; -- Begin function _ZN2at6native12_GLOBAL__N_124compute_grad_weight_bagsIN3c108BFloat16ElEEvPKT0_PKT_S7_S7_lliS7_SA_lS7_PKlPNS_14AccumulateTypeIS8_Lb1EE4typeEl
	.p2align	8
	.type	_ZN2at6native12_GLOBAL__N_124compute_grad_weight_bagsIN3c108BFloat16ElEEvPKT0_PKT_S7_S7_lliS7_SA_lS7_PKlPNS_14AccumulateTypeIS8_Lb1EE4typeEl,@function
_ZN2at6native12_GLOBAL__N_124compute_grad_weight_bagsIN3c108BFloat16ElEEvPKT0_PKT_S7_S7_lliS7_SA_lS7_PKlPNS_14AccumulateTypeIS8_Lb1EE4typeEl: ; @_ZN2at6native12_GLOBAL__N_124compute_grad_weight_bagsIN3c108BFloat16ElEEvPKT0_PKT_S7_S7_lliS7_SA_lS7_PKlPNS_14AccumulateTypeIS8_Lb1EE4typeEl
; %bb.0:
	s_load_dword s0, s[4:5], 0x7c
	s_load_dwordx4 s[24:27], s[4:5], 0x58
	s_load_dwordx2 s[2:3], s[4:5], 0x68
	v_mov_b32_e32 v1, 0
	v_mov_b32_e32 v2, s6
	s_waitcnt lgkmcnt(0)
	s_and_b32 s0, s0, 0xffff
	v_mad_u64_u32 v[2:3], s[0:1], s0, v2, v[0:1]
	v_or_b32_e32 v5, s3, v3
	v_mov_b32_e32 v4, v1
	v_cmp_ne_u64_e32 vcc, 0, v[4:5]
                                        ; implicit-def: $vgpr0_vgpr1
	s_and_saveexec_b64 s[0:1], vcc
	s_xor_b64 s[6:7], exec, s[0:1]
	s_cbranch_execz .LBB113_2
; %bb.1:
	s_ashr_i32 s8, s3, 31
	s_add_u32 s0, s2, s8
	s_mov_b32 s9, s8
	s_addc_u32 s1, s3, s8
	s_xor_b64 s[10:11], s[0:1], s[8:9]
	v_cvt_f32_u32_e32 v0, s10
	v_cvt_f32_u32_e32 v1, s11
	s_sub_u32 s0, 0, s10
	s_subb_u32 s1, 0, s11
	v_madmk_f32 v0, v1, 0x4f800000, v0
	v_rcp_f32_e32 v0, v0
	v_mul_f32_e32 v0, 0x5f7ffffc, v0
	v_mul_f32_e32 v1, 0x2f800000, v0
	v_trunc_f32_e32 v1, v1
	v_madmk_f32 v0, v1, 0xcf800000, v0
	v_cvt_u32_f32_e32 v1, v1
	v_cvt_u32_f32_e32 v0, v0
	v_mul_lo_u32 v4, s0, v1
	v_mul_hi_u32 v6, s0, v0
	v_mul_lo_u32 v5, s1, v0
	v_add_u32_e32 v4, v6, v4
	v_mul_lo_u32 v7, s0, v0
	v_add_u32_e32 v4, v4, v5
	v_mul_lo_u32 v6, v0, v4
	v_mul_hi_u32 v8, v0, v7
	v_mul_hi_u32 v5, v0, v4
	v_add_co_u32_e32 v6, vcc, v8, v6
	v_addc_co_u32_e32 v5, vcc, 0, v5, vcc
	v_mul_hi_u32 v9, v1, v7
	v_mul_lo_u32 v7, v1, v7
	v_add_co_u32_e32 v6, vcc, v6, v7
	v_mul_hi_u32 v8, v1, v4
	v_addc_co_u32_e32 v5, vcc, v5, v9, vcc
	v_addc_co_u32_e32 v6, vcc, 0, v8, vcc
	v_mul_lo_u32 v4, v1, v4
	v_add_co_u32_e32 v4, vcc, v5, v4
	v_addc_co_u32_e32 v5, vcc, 0, v6, vcc
	v_add_co_u32_e32 v0, vcc, v0, v4
	v_addc_co_u32_e32 v1, vcc, v1, v5, vcc
	v_mul_lo_u32 v4, s0, v1
	v_mul_hi_u32 v5, s0, v0
	v_add_u32_e32 v4, v5, v4
	v_mul_lo_u32 v5, s1, v0
	v_add_u32_e32 v4, v4, v5
	v_mul_lo_u32 v6, s0, v0
	v_mul_hi_u32 v7, v1, v6
	v_mul_lo_u32 v8, v1, v6
	v_mul_lo_u32 v10, v0, v4
	v_mul_hi_u32 v6, v0, v6
	v_mul_hi_u32 v9, v0, v4
	v_add_co_u32_e32 v6, vcc, v6, v10
	v_addc_co_u32_e32 v9, vcc, 0, v9, vcc
	v_add_co_u32_e32 v6, vcc, v6, v8
	v_mul_hi_u32 v5, v1, v4
	v_addc_co_u32_e32 v6, vcc, v9, v7, vcc
	v_addc_co_u32_e32 v5, vcc, 0, v5, vcc
	v_mul_lo_u32 v4, v1, v4
	v_add_co_u32_e32 v4, vcc, v6, v4
	v_addc_co_u32_e32 v5, vcc, 0, v5, vcc
	v_add_co_u32_e32 v4, vcc, v0, v4
	v_addc_co_u32_e32 v5, vcc, v1, v5, vcc
	v_ashrrev_i32_e32 v6, 31, v3
	v_add_co_u32_e32 v0, vcc, v2, v6
	v_addc_co_u32_e32 v1, vcc, v3, v6, vcc
	v_xor_b32_e32 v8, v0, v6
	v_xor_b32_e32 v7, v1, v6
	v_mad_u64_u32 v[0:1], s[0:1], v8, v5, 0
	v_mul_hi_u32 v9, v8, v4
	v_add_co_u32_e32 v9, vcc, v9, v0
	v_addc_co_u32_e32 v10, vcc, 0, v1, vcc
	v_mad_u64_u32 v[0:1], s[0:1], v7, v5, 0
	v_mad_u64_u32 v[4:5], s[0:1], v7, v4, 0
	v_add_co_u32_e32 v4, vcc, v9, v4
	v_addc_co_u32_e32 v4, vcc, v10, v5, vcc
	v_addc_co_u32_e32 v1, vcc, 0, v1, vcc
	v_add_co_u32_e32 v4, vcc, v4, v0
	v_addc_co_u32_e32 v5, vcc, 0, v1, vcc
	v_mul_lo_u32 v9, s11, v4
	v_mul_lo_u32 v10, s10, v5
	v_mad_u64_u32 v[0:1], s[0:1], s10, v4, 0
	v_add3_u32 v1, v1, v10, v9
	v_sub_u32_e32 v9, v7, v1
	v_mov_b32_e32 v10, s11
	v_sub_co_u32_e32 v0, vcc, v8, v0
	v_subb_co_u32_e64 v8, s[0:1], v9, v10, vcc
	v_subrev_co_u32_e64 v9, s[0:1], s10, v0
	v_subbrev_co_u32_e64 v8, s[0:1], 0, v8, s[0:1]
	v_cmp_le_u32_e64 s[0:1], s11, v8
	v_cndmask_b32_e64 v10, 0, -1, s[0:1]
	v_cmp_le_u32_e64 s[0:1], s10, v9
	v_cndmask_b32_e64 v9, 0, -1, s[0:1]
	v_cmp_eq_u32_e64 s[0:1], s11, v8
	v_cndmask_b32_e64 v8, v10, v9, s[0:1]
	v_add_co_u32_e64 v9, s[0:1], 2, v4
	v_subb_co_u32_e32 v1, vcc, v7, v1, vcc
	v_addc_co_u32_e64 v10, s[0:1], 0, v5, s[0:1]
	v_cmp_le_u32_e32 vcc, s11, v1
	v_add_co_u32_e64 v11, s[0:1], 1, v4
	v_cndmask_b32_e64 v7, 0, -1, vcc
	v_cmp_le_u32_e32 vcc, s10, v0
	v_addc_co_u32_e64 v12, s[0:1], 0, v5, s[0:1]
	v_cndmask_b32_e64 v0, 0, -1, vcc
	v_cmp_eq_u32_e32 vcc, s11, v1
	v_cmp_ne_u32_e64 s[0:1], 0, v8
	v_cndmask_b32_e32 v0, v7, v0, vcc
	v_cndmask_b32_e64 v8, v12, v10, s[0:1]
	v_cmp_ne_u32_e32 vcc, 0, v0
	v_cndmask_b32_e64 v1, v11, v9, s[0:1]
	v_cndmask_b32_e32 v0, v5, v8, vcc
	v_cndmask_b32_e32 v1, v4, v1, vcc
	v_xor_b32_e32 v4, s8, v6
	v_xor_b32_e32 v5, v0, v4
	v_xor_b32_e32 v0, v1, v4
	v_sub_co_u32_e32 v0, vcc, v0, v4
	v_subb_co_u32_e32 v1, vcc, v5, v4, vcc
.LBB113_2:
	s_or_saveexec_b64 s[0:1], s[6:7]
	s_load_dwordx2 s[6:7], s[24:25], 0x0
	s_xor_b64 exec, exec, s[0:1]
	s_cbranch_execz .LBB113_4
; %bb.3:
	v_cvt_f32_u32_e32 v0, s2
	s_sub_i32 s8, 0, s2
	v_rcp_iflag_f32_e32 v0, v0
	v_mul_f32_e32 v0, 0x4f7ffffe, v0
	v_cvt_u32_f32_e32 v0, v0
	v_mul_lo_u32 v1, s8, v0
	v_mul_hi_u32 v1, v0, v1
	v_add_u32_e32 v0, v0, v1
	v_mul_hi_u32 v0, v2, v0
	v_mul_lo_u32 v1, v0, s2
	v_sub_u32_e32 v1, v2, v1
	v_add_u32_e32 v4, 1, v0
	v_subrev_u32_e32 v5, s2, v1
	v_cmp_le_u32_e32 vcc, s2, v1
	v_cndmask_b32_e32 v1, v1, v5, vcc
	v_cndmask_b32_e32 v0, v0, v4, vcc
	v_add_u32_e32 v4, 1, v0
	v_cmp_le_u32_e32 vcc, s2, v1
	v_cndmask_b32_e32 v0, v0, v4, vcc
	v_mov_b32_e32 v1, 0
.LBB113_4:
	s_or_b64 exec, exec, s[0:1]
	s_load_dwordx4 s[28:31], s[4:5], 0x20
	v_mul_lo_u32 v6, v1, s2
	v_mul_lo_u32 v7, v0, s3
	v_mad_u64_u32 v[4:5], s[0:1], v0, s2, 0
	v_add3_u32 v5, v5, v7, v6
	v_sub_co_u32_e32 v2, vcc, v2, v4
	v_subb_co_u32_e32 v3, vcc, v3, v5, vcc
	s_waitcnt lgkmcnt(0)
	v_cmp_gt_i64_e32 vcc, s[30:31], v[2:3]
	v_cmp_gt_i64_e64 s[0:1], s[6:7], v[0:1]
	s_and_b64 s[0:1], vcc, s[0:1]
	s_and_saveexec_b64 s[2:3], s[0:1]
	s_cbranch_execz .LBB113_18
; %bb.5:
	s_load_dwordx8 s[8:15], s[4:5], 0x38
	v_lshlrev_b64 v[4:5], 3, v[0:1]
	s_load_dwordx8 s[16:23], s[4:5], 0x0
	s_add_u32 s0, s6, -1
	s_addc_u32 s1, s7, -1
	s_waitcnt lgkmcnt(0)
	v_mov_b32_e32 v6, s15
	v_add_co_u32_e32 v8, vcc, s14, v4
	v_addc_co_u32_e32 v9, vcc, v6, v5, vcc
	global_load_dwordx2 v[4:5], v[8:9], off
	v_cmp_ne_u64_e32 vcc, s[0:1], v[0:1]
	v_pk_mov_b32 v[6:7], s[28:29], s[28:29] op_sel:[0,1]
	s_and_saveexec_b64 s[0:1], vcc
	s_cbranch_execz .LBB113_7
; %bb.6:
	global_load_dwordx2 v[6:7], v[8:9], off offset:8
.LBB113_7:
	s_or_b64 exec, exec, s[0:1]
	s_waitcnt vmcnt(0)
	v_cmp_lt_i32_e32 vcc, v4, v6
	v_mov_b32_e32 v5, 0
	s_and_saveexec_b64 s[6:7], vcc
	s_cbranch_execz .LBB113_17
; %bb.8:
	v_lshlrev_b64 v[8:9], 1, v[2:3]
	v_mov_b32_e32 v5, s19
	v_add_co_u32_e32 v7, vcc, s18, v8
	v_addc_co_u32_e32 v20, vcc, v5, v9, vcc
	v_ashrrev_i32_e32 v5, 31, v4
	s_load_dword s14, s[4:5], 0x30
	v_lshlrev_b64 v[10:11], 3, v[4:5]
	v_mov_b32_e32 v5, s17
	v_add_co_u32_e32 v8, vcc, s16, v10
	s_cmp_lg_u64 s[22:23], 0
	v_addc_co_u32_e32 v9, vcc, v5, v11, vcc
	s_cselect_b64 s[0:1], -1, 0
	s_cmp_lg_u64 s[10:11], 0
	v_mov_b32_e32 v5, s23
	v_add_co_u32_e32 v10, vcc, s22, v10
	s_cselect_b64 s[2:3], -1, 0
	v_addc_co_u32_e32 v11, vcc, v5, v11, vcc
	v_cndmask_b32_e64 v5, 0, 1, s[0:1]
	s_waitcnt lgkmcnt(0)
	s_cmp_lg_u32 s14, 0
	v_cmp_ne_u32_e64 s[0:1], 1, v5
	v_cndmask_b32_e64 v5, 0, 1, s[2:3]
	s_mov_b64 s[4:5], 0
	s_mov_b32 s18, s30
	s_cselect_b64 s[14:15], -1, 0
	v_mov_b32_e32 v12, 0
	v_mov_b32_e32 v21, s21
	v_cmp_ne_u32_e64 s[2:3], 1, v5
	v_mov_b32_e32 v5, 0
	s_branch .LBB113_10
.LBB113_9:                              ;   in Loop: Header=BB113_10 Depth=1
	v_add_co_u32_e32 v8, vcc, 8, v8
	v_add_u32_e32 v4, 1, v4
	v_addc_co_u32_e32 v9, vcc, 0, v9, vcc
	v_cmp_ge_i32_e32 vcc, v4, v6
	s_or_b64 s[4:5], vcc, s[4:5]
	v_add_co_u32_e32 v10, vcc, 8, v10
	v_fmac_f32_e32 v5, v18, v15
	v_addc_co_u32_e32 v11, vcc, 0, v11, vcc
	s_andn2_b64 exec, exec, s[4:5]
	s_cbranch_execz .LBB113_16
.LBB113_10:                             ; =>This Inner Loop Header: Depth=1
	global_load_dword v16, v[8:9], off
	s_waitcnt vmcnt(0)
	v_ashrrev_i32_e32 v17, 31, v16
	v_lshlrev_b64 v[14:15], 3, v[16:17]
	v_add_co_u32_e32 v14, vcc, s20, v14
	v_addc_co_u32_e32 v15, vcc, v21, v15, vcc
	global_load_dwordx2 v[14:15], v[14:15], off
	s_and_b64 vcc, exec, s[0:1]
	s_cbranch_vccnz .LBB113_15
; %bb.11:                               ;   in Loop: Header=BB113_10 Depth=1
	global_load_dwordx2 v[18:19], v[10:11], off
	s_waitcnt vmcnt(0)
	v_cvt_f64_i32_e32 v[22:23], v19
	v_cvt_f64_u32_e32 v[18:19], v18
	v_ldexp_f64 v[22:23], v[22:23], 32
	v_add_f64 v[18:19], v[22:23], v[18:19]
	v_div_scale_f64 v[22:23], s[16:17], v[18:19], v[18:19], 1.0
	v_rcp_f64_e32 v[24:25], v[22:23]
	v_div_scale_f64 v[26:27], vcc, 1.0, v[18:19], 1.0
	v_fma_f64 v[28:29], -v[22:23], v[24:25], 1.0
	v_fmac_f64_e32 v[24:25], v[24:25], v[28:29]
	v_fma_f64 v[28:29], -v[22:23], v[24:25], 1.0
	v_fmac_f64_e32 v[24:25], v[24:25], v[28:29]
	v_mul_f64 v[28:29], v[26:27], v[24:25]
	v_fma_f64 v[22:23], -v[22:23], v[28:29], v[26:27]
	v_div_fmas_f64 v[22:23], v[22:23], v[24:25], v[28:29]
	v_div_fixup_f64 v[18:19], v[22:23], v[18:19], 1.0
	s_and_b64 vcc, exec, s[2:3]
	v_cvt_f32_f64_e32 v18, v[18:19]
	s_cbranch_vccnz .LBB113_13
.LBB113_12:                             ;   in Loop: Header=BB113_10 Depth=1
	v_mul_lo_u32 v13, v17, s12
	v_mul_lo_u32 v19, v16, s13
	v_mad_u64_u32 v[16:17], s[16:17], v16, s12, 0
	v_add3_u32 v17, v17, v19, v13
	v_lshlrev_b64 v[16:17], 1, v[16:17]
	v_mov_b32_e32 v13, s11
	v_add_co_u32_e32 v16, vcc, s10, v16
	v_addc_co_u32_e32 v17, vcc, v13, v17, vcc
	global_load_ushort v13, v[16:17], off
	s_waitcnt vmcnt(0)
	v_lshlrev_b32_e32 v13, 16, v13
	v_mul_f32_e32 v18, v18, v13
.LBB113_13:                             ;   in Loop: Header=BB113_10 Depth=1
	s_waitcnt vmcnt(0)
	v_mul_lo_u32 v13, s18, v14
	v_mul_lo_u32 v15, 0, v15
	v_mad_u64_u32 v[16:17], s[16:17], 0, v14, 0
	v_add3_u32 v17, v17, v15, v13
	v_ashrrev_i64 v[16:17], 31, v[16:17]
	v_add_co_u32_e32 v16, vcc, v7, v16
	v_addc_co_u32_e32 v17, vcc, v20, v17, vcc
	global_load_ushort v13, v[16:17], off
	s_andn2_b64 vcc, exec, s[14:15]
	s_waitcnt vmcnt(0)
	v_lshlrev_b32_e32 v15, 16, v13
	s_cbranch_vccnz .LBB113_9
; %bb.14:                               ;   in Loop: Header=BB113_10 Depth=1
	v_mov_b32_e32 v13, v14
	v_ashrrev_i64 v[16:17], 29, v[12:13]
	v_mov_b32_e32 v13, s9
	v_add_co_u32_e32 v16, vcc, s8, v16
	v_addc_co_u32_e32 v17, vcc, v13, v17, vcc
	global_load_dwordx2 v[16:17], v[16:17], off
	s_waitcnt vmcnt(0)
	v_xor_b32_e32 v13, v16, v17
	v_ffbh_i32_e32 v14, v17
	v_ashrrev_i32_e32 v13, 31, v13
	v_add_u32_e32 v14, -1, v14
	v_add_u32_e32 v13, 32, v13
	v_min_u32_e32 v13, v14, v13
	v_lshlrev_b64 v[16:17], v13, v[16:17]
	v_min_u32_e32 v14, 1, v16
	v_or_b32_e32 v14, v17, v14
	v_cvt_f32_i32_e32 v14, v14
	v_sub_u32_e32 v13, 32, v13
	v_ldexp_f32 v13, v14, v13
	v_div_scale_f32 v14, s[16:17], v13, v13, v15
	v_rcp_f32_e32 v16, v14
	v_div_scale_f32 v17, vcc, v15, v13, v15
	v_fma_f32 v19, -v14, v16, 1.0
	v_fmac_f32_e32 v16, v19, v16
	v_mul_f32_e32 v19, v17, v16
	v_fma_f32 v22, -v14, v19, v17
	v_fmac_f32_e32 v19, v22, v16
	v_fma_f32 v14, -v14, v19, v17
	v_div_fmas_f32 v14, v14, v16, v19
	v_div_fixup_f32 v15, v14, v13, v15
	s_branch .LBB113_9
.LBB113_15:                             ;   in Loop: Header=BB113_10 Depth=1
	v_mov_b32_e32 v18, 0
	v_mov_b32_e32 v19, 0x3ff00000
	s_and_b64 vcc, exec, s[2:3]
	v_cvt_f32_f64_e32 v18, v[18:19]
	s_cbranch_vccz .LBB113_12
	s_branch .LBB113_13
.LBB113_16:
	s_or_b64 exec, exec, s[4:5]
.LBB113_17:
	s_or_b64 exec, exec, s[6:7]
	v_mul_lo_u32 v4, v1, s30
	v_mul_lo_u32 v6, v0, s31
	v_mad_u64_u32 v[0:1], s[0:1], v0, s30, 0
	v_add3_u32 v1, v1, v6, v4
	v_lshlrev_b64 v[0:1], 2, v[0:1]
	v_mov_b32_e32 v4, s27
	v_add_co_u32_e32 v6, vcc, s26, v0
	v_addc_co_u32_e32 v4, vcc, v4, v1, vcc
	v_lshlrev_b64 v[0:1], 2, v[2:3]
	v_add_co_u32_e32 v0, vcc, v6, v0
	v_addc_co_u32_e32 v1, vcc, v4, v1, vcc
	global_store_dword v[0:1], v5, off
.LBB113_18:
	s_endpgm
	.section	.rodata,"a",@progbits
	.p2align	6, 0x0
	.amdhsa_kernel _ZN2at6native12_GLOBAL__N_124compute_grad_weight_bagsIN3c108BFloat16ElEEvPKT0_PKT_S7_S7_lliS7_SA_lS7_PKlPNS_14AccumulateTypeIS8_Lb1EE4typeEl
		.amdhsa_group_segment_fixed_size 0
		.amdhsa_private_segment_fixed_size 0
		.amdhsa_kernarg_size 368
		.amdhsa_user_sgpr_count 6
		.amdhsa_user_sgpr_private_segment_buffer 1
		.amdhsa_user_sgpr_dispatch_ptr 0
		.amdhsa_user_sgpr_queue_ptr 0
		.amdhsa_user_sgpr_kernarg_segment_ptr 1
		.amdhsa_user_sgpr_dispatch_id 0
		.amdhsa_user_sgpr_flat_scratch_init 0
		.amdhsa_user_sgpr_kernarg_preload_length 0
		.amdhsa_user_sgpr_kernarg_preload_offset 0
		.amdhsa_user_sgpr_private_segment_size 0
		.amdhsa_uses_dynamic_stack 0
		.amdhsa_system_sgpr_private_segment_wavefront_offset 0
		.amdhsa_system_sgpr_workgroup_id_x 1
		.amdhsa_system_sgpr_workgroup_id_y 0
		.amdhsa_system_sgpr_workgroup_id_z 0
		.amdhsa_system_sgpr_workgroup_info 0
		.amdhsa_system_vgpr_workitem_id 0
		.amdhsa_next_free_vgpr 30
		.amdhsa_next_free_sgpr 32
		.amdhsa_accum_offset 32
		.amdhsa_reserve_vcc 1
		.amdhsa_reserve_flat_scratch 0
		.amdhsa_float_round_mode_32 0
		.amdhsa_float_round_mode_16_64 0
		.amdhsa_float_denorm_mode_32 3
		.amdhsa_float_denorm_mode_16_64 3
		.amdhsa_dx10_clamp 1
		.amdhsa_ieee_mode 1
		.amdhsa_fp16_overflow 0
		.amdhsa_tg_split 0
		.amdhsa_exception_fp_ieee_invalid_op 0
		.amdhsa_exception_fp_denorm_src 0
		.amdhsa_exception_fp_ieee_div_zero 0
		.amdhsa_exception_fp_ieee_overflow 0
		.amdhsa_exception_fp_ieee_underflow 0
		.amdhsa_exception_fp_ieee_inexact 0
		.amdhsa_exception_int_div_zero 0
	.end_amdhsa_kernel
	.section	.text._ZN2at6native12_GLOBAL__N_124compute_grad_weight_bagsIN3c108BFloat16ElEEvPKT0_PKT_S7_S7_lliS7_SA_lS7_PKlPNS_14AccumulateTypeIS8_Lb1EE4typeEl,"axG",@progbits,_ZN2at6native12_GLOBAL__N_124compute_grad_weight_bagsIN3c108BFloat16ElEEvPKT0_PKT_S7_S7_lliS7_SA_lS7_PKlPNS_14AccumulateTypeIS8_Lb1EE4typeEl,comdat
.Lfunc_end113:
	.size	_ZN2at6native12_GLOBAL__N_124compute_grad_weight_bagsIN3c108BFloat16ElEEvPKT0_PKT_S7_S7_lliS7_SA_lS7_PKlPNS_14AccumulateTypeIS8_Lb1EE4typeEl, .Lfunc_end113-_ZN2at6native12_GLOBAL__N_124compute_grad_weight_bagsIN3c108BFloat16ElEEvPKT0_PKT_S7_S7_lliS7_SA_lS7_PKlPNS_14AccumulateTypeIS8_Lb1EE4typeEl
                                        ; -- End function
	.section	.AMDGPU.csdata,"",@progbits
; Kernel info:
; codeLenInByte = 1852
; NumSgprs: 36
; NumVgprs: 30
; NumAgprs: 0
; TotalNumVgprs: 30
; ScratchSize: 0
; MemoryBound: 0
; FloatMode: 240
; IeeeMode: 1
; LDSByteSize: 0 bytes/workgroup (compile time only)
; SGPRBlocks: 4
; VGPRBlocks: 3
; NumSGPRsForWavesPerEU: 36
; NumVGPRsForWavesPerEU: 30
; AccumOffset: 32
; Occupancy: 8
; WaveLimiterHint : 1
; COMPUTE_PGM_RSRC2:SCRATCH_EN: 0
; COMPUTE_PGM_RSRC2:USER_SGPR: 6
; COMPUTE_PGM_RSRC2:TRAP_HANDLER: 0
; COMPUTE_PGM_RSRC2:TGID_X_EN: 1
; COMPUTE_PGM_RSRC2:TGID_Y_EN: 0
; COMPUTE_PGM_RSRC2:TGID_Z_EN: 0
; COMPUTE_PGM_RSRC2:TIDIG_COMP_CNT: 0
; COMPUTE_PGM_RSRC3_GFX90A:ACCUM_OFFSET: 7
; COMPUTE_PGM_RSRC3_GFX90A:TG_SPLIT: 0
	.section	.text._ZN2at6native12_GLOBAL__N_119compute_grad_weightIN3c108BFloat16ElEEvPKT0_PKT_S7_llS7_PKlPNS_14AccumulateTypeIS8_Lb1EE4typeEl,"axG",@progbits,_ZN2at6native12_GLOBAL__N_119compute_grad_weightIN3c108BFloat16ElEEvPKT0_PKT_S7_llS7_PKlPNS_14AccumulateTypeIS8_Lb1EE4typeEl,comdat
	.globl	_ZN2at6native12_GLOBAL__N_119compute_grad_weightIN3c108BFloat16ElEEvPKT0_PKT_S7_llS7_PKlPNS_14AccumulateTypeIS8_Lb1EE4typeEl ; -- Begin function _ZN2at6native12_GLOBAL__N_119compute_grad_weightIN3c108BFloat16ElEEvPKT0_PKT_S7_llS7_PKlPNS_14AccumulateTypeIS8_Lb1EE4typeEl
	.p2align	8
	.type	_ZN2at6native12_GLOBAL__N_119compute_grad_weightIN3c108BFloat16ElEEvPKT0_PKT_S7_llS7_PKlPNS_14AccumulateTypeIS8_Lb1EE4typeEl,@function
_ZN2at6native12_GLOBAL__N_119compute_grad_weightIN3c108BFloat16ElEEvPKT0_PKT_S7_llS7_PKlPNS_14AccumulateTypeIS8_Lb1EE4typeEl: ; @_ZN2at6native12_GLOBAL__N_119compute_grad_weightIN3c108BFloat16ElEEvPKT0_PKT_S7_llS7_PKlPNS_14AccumulateTypeIS8_Lb1EE4typeEl
; %bb.0:
	s_load_dword s0, s[4:5], 0x54
	s_load_dwordx2 s[2:3], s[4:5], 0x40
	s_load_dwordx16 s[8:23], s[4:5], 0x0
	v_mov_b32_e32 v1, 0
	v_mov_b32_e32 v2, s6
	s_waitcnt lgkmcnt(0)
	s_and_b32 s0, s0, 0xffff
	v_mad_u64_u32 v[2:3], s[0:1], s0, v2, v[0:1]
	v_or_b32_e32 v5, s3, v3
	v_mov_b32_e32 v4, v1
	v_cmp_ne_u64_e32 vcc, 0, v[4:5]
                                        ; implicit-def: $vgpr0_vgpr1
	s_and_saveexec_b64 s[0:1], vcc
	s_xor_b64 s[4:5], exec, s[0:1]
	s_cbranch_execz .LBB114_2
; %bb.1:
	s_ashr_i32 s6, s3, 31
	s_add_u32 s0, s2, s6
	s_mov_b32 s7, s6
	s_addc_u32 s1, s3, s6
	s_xor_b64 s[24:25], s[0:1], s[6:7]
	v_cvt_f32_u32_e32 v0, s24
	v_cvt_f32_u32_e32 v1, s25
	s_sub_u32 s0, 0, s24
	s_subb_u32 s1, 0, s25
	v_madmk_f32 v0, v1, 0x4f800000, v0
	v_rcp_f32_e32 v0, v0
	v_mul_f32_e32 v0, 0x5f7ffffc, v0
	v_mul_f32_e32 v1, 0x2f800000, v0
	v_trunc_f32_e32 v1, v1
	v_madmk_f32 v0, v1, 0xcf800000, v0
	v_cvt_u32_f32_e32 v1, v1
	v_cvt_u32_f32_e32 v0, v0
	v_mul_lo_u32 v4, s0, v1
	v_mul_hi_u32 v6, s0, v0
	v_mul_lo_u32 v5, s1, v0
	v_add_u32_e32 v4, v6, v4
	v_mul_lo_u32 v7, s0, v0
	v_add_u32_e32 v4, v4, v5
	v_mul_lo_u32 v6, v0, v4
	v_mul_hi_u32 v8, v0, v7
	v_mul_hi_u32 v5, v0, v4
	v_add_co_u32_e32 v6, vcc, v8, v6
	v_addc_co_u32_e32 v5, vcc, 0, v5, vcc
	v_mul_hi_u32 v9, v1, v7
	v_mul_lo_u32 v7, v1, v7
	v_add_co_u32_e32 v6, vcc, v6, v7
	v_mul_hi_u32 v8, v1, v4
	v_addc_co_u32_e32 v5, vcc, v5, v9, vcc
	v_addc_co_u32_e32 v6, vcc, 0, v8, vcc
	v_mul_lo_u32 v4, v1, v4
	v_add_co_u32_e32 v4, vcc, v5, v4
	v_addc_co_u32_e32 v5, vcc, 0, v6, vcc
	v_add_co_u32_e32 v0, vcc, v0, v4
	v_addc_co_u32_e32 v1, vcc, v1, v5, vcc
	v_mul_lo_u32 v4, s0, v1
	v_mul_hi_u32 v5, s0, v0
	v_add_u32_e32 v4, v5, v4
	v_mul_lo_u32 v5, s1, v0
	v_add_u32_e32 v4, v4, v5
	v_mul_lo_u32 v6, s0, v0
	v_mul_hi_u32 v7, v1, v6
	v_mul_lo_u32 v8, v1, v6
	v_mul_lo_u32 v10, v0, v4
	v_mul_hi_u32 v6, v0, v6
	v_mul_hi_u32 v9, v0, v4
	v_add_co_u32_e32 v6, vcc, v6, v10
	v_addc_co_u32_e32 v9, vcc, 0, v9, vcc
	v_add_co_u32_e32 v6, vcc, v6, v8
	v_mul_hi_u32 v5, v1, v4
	v_addc_co_u32_e32 v6, vcc, v9, v7, vcc
	v_addc_co_u32_e32 v5, vcc, 0, v5, vcc
	v_mul_lo_u32 v4, v1, v4
	v_add_co_u32_e32 v4, vcc, v6, v4
	v_addc_co_u32_e32 v5, vcc, 0, v5, vcc
	v_add_co_u32_e32 v4, vcc, v0, v4
	v_addc_co_u32_e32 v5, vcc, v1, v5, vcc
	v_ashrrev_i32_e32 v6, 31, v3
	v_add_co_u32_e32 v0, vcc, v2, v6
	v_addc_co_u32_e32 v1, vcc, v3, v6, vcc
	v_xor_b32_e32 v8, v0, v6
	v_xor_b32_e32 v7, v1, v6
	v_mad_u64_u32 v[0:1], s[0:1], v8, v5, 0
	v_mul_hi_u32 v9, v8, v4
	v_add_co_u32_e32 v9, vcc, v9, v0
	v_addc_co_u32_e32 v10, vcc, 0, v1, vcc
	v_mad_u64_u32 v[0:1], s[0:1], v7, v5, 0
	v_mad_u64_u32 v[4:5], s[0:1], v7, v4, 0
	v_add_co_u32_e32 v4, vcc, v9, v4
	v_addc_co_u32_e32 v4, vcc, v10, v5, vcc
	v_addc_co_u32_e32 v1, vcc, 0, v1, vcc
	v_add_co_u32_e32 v4, vcc, v4, v0
	v_addc_co_u32_e32 v5, vcc, 0, v1, vcc
	v_mul_lo_u32 v9, s25, v4
	v_mul_lo_u32 v10, s24, v5
	v_mad_u64_u32 v[0:1], s[0:1], s24, v4, 0
	v_add3_u32 v1, v1, v10, v9
	v_sub_u32_e32 v9, v7, v1
	v_mov_b32_e32 v10, s25
	v_sub_co_u32_e32 v0, vcc, v8, v0
	v_subb_co_u32_e64 v8, s[0:1], v9, v10, vcc
	v_subrev_co_u32_e64 v9, s[0:1], s24, v0
	v_subbrev_co_u32_e64 v8, s[0:1], 0, v8, s[0:1]
	v_cmp_le_u32_e64 s[0:1], s25, v8
	v_cndmask_b32_e64 v10, 0, -1, s[0:1]
	v_cmp_le_u32_e64 s[0:1], s24, v9
	v_cndmask_b32_e64 v9, 0, -1, s[0:1]
	v_cmp_eq_u32_e64 s[0:1], s25, v8
	v_cndmask_b32_e64 v8, v10, v9, s[0:1]
	v_add_co_u32_e64 v9, s[0:1], 2, v4
	v_subb_co_u32_e32 v1, vcc, v7, v1, vcc
	v_addc_co_u32_e64 v10, s[0:1], 0, v5, s[0:1]
	v_cmp_le_u32_e32 vcc, s25, v1
	v_add_co_u32_e64 v11, s[0:1], 1, v4
	v_cndmask_b32_e64 v7, 0, -1, vcc
	v_cmp_le_u32_e32 vcc, s24, v0
	v_addc_co_u32_e64 v12, s[0:1], 0, v5, s[0:1]
	v_cndmask_b32_e64 v0, 0, -1, vcc
	v_cmp_eq_u32_e32 vcc, s25, v1
	v_cmp_ne_u32_e64 s[0:1], 0, v8
	v_cndmask_b32_e32 v0, v7, v0, vcc
	v_cndmask_b32_e64 v8, v12, v10, s[0:1]
	v_cmp_ne_u32_e32 vcc, 0, v0
	v_cndmask_b32_e64 v1, v11, v9, s[0:1]
	v_cndmask_b32_e32 v0, v5, v8, vcc
	v_cndmask_b32_e32 v1, v4, v1, vcc
	v_xor_b32_e32 v4, s6, v6
	v_xor_b32_e32 v5, v0, v4
	;; [unrolled: 1-line block ×3, first 2 shown]
	v_sub_co_u32_e32 v0, vcc, v0, v4
	v_subb_co_u32_e32 v1, vcc, v5, v4, vcc
.LBB114_2:
	s_or_saveexec_b64 s[0:1], s[4:5]
	s_load_dwordx2 s[4:5], s[20:21], 0x0
	s_xor_b64 exec, exec, s[0:1]
	s_cbranch_execz .LBB114_4
; %bb.3:
	v_cvt_f32_u32_e32 v0, s2
	s_sub_i32 s6, 0, s2
	v_rcp_iflag_f32_e32 v0, v0
	v_mul_f32_e32 v0, 0x4f7ffffe, v0
	v_cvt_u32_f32_e32 v0, v0
	v_mul_lo_u32 v1, s6, v0
	v_mul_hi_u32 v1, v0, v1
	v_add_u32_e32 v0, v0, v1
	v_mul_hi_u32 v0, v2, v0
	v_mul_lo_u32 v1, v0, s2
	v_sub_u32_e32 v1, v2, v1
	v_add_u32_e32 v4, 1, v0
	v_subrev_u32_e32 v5, s2, v1
	v_cmp_le_u32_e32 vcc, s2, v1
	v_cndmask_b32_e32 v1, v1, v5, vcc
	v_cndmask_b32_e32 v0, v0, v4, vcc
	v_add_u32_e32 v4, 1, v0
	v_cmp_le_u32_e32 vcc, s2, v1
	v_cndmask_b32_e32 v0, v0, v4, vcc
	v_mov_b32_e32 v1, 0
.LBB114_4:
	s_or_b64 exec, exec, s[0:1]
	v_mul_lo_u32 v6, v1, s2
	v_mul_lo_u32 v7, v0, s3
	v_mad_u64_u32 v[4:5], s[0:1], v0, s2, 0
	v_add3_u32 v5, v5, v7, v6
	v_sub_co_u32_e32 v2, vcc, v2, v4
	v_subb_co_u32_e32 v3, vcc, v3, v5, vcc
	v_cmp_gt_i64_e32 vcc, s[16:17], v[2:3]
	s_waitcnt lgkmcnt(0)
	v_cmp_gt_i64_e64 s[0:1], s[4:5], v[0:1]
	s_and_b64 s[0:1], vcc, s[0:1]
	s_and_saveexec_b64 s[2:3], s[0:1]
	s_cbranch_execz .LBB114_15
; %bb.5:
	v_lshlrev_b64 v[4:5], 3, v[0:1]
	v_mov_b32_e32 v6, s19
	v_add_co_u32_e32 v8, vcc, s18, v4
	v_addc_co_u32_e32 v9, vcc, v6, v5, vcc
	global_load_dwordx2 v[4:5], v[8:9], off
	s_add_u32 s0, s4, -1
	s_addc_u32 s1, s5, -1
	v_cmp_ne_u64_e32 vcc, s[0:1], v[0:1]
	v_pk_mov_b32 v[6:7], s[14:15], s[14:15] op_sel:[0,1]
	s_and_saveexec_b64 s[0:1], vcc
	s_cbranch_execz .LBB114_7
; %bb.6:
	global_load_dwordx2 v[6:7], v[8:9], off offset:8
.LBB114_7:
	s_or_b64 exec, exec, s[0:1]
	s_waitcnt vmcnt(0)
	v_cmp_lt_i32_e32 vcc, v4, v6
	v_mov_b32_e32 v5, 0
	s_and_saveexec_b64 s[2:3], vcc
	s_cbranch_execz .LBB114_14
; %bb.8:
	v_lshlrev_b64 v[8:9], 1, v[2:3]
	v_mov_b32_e32 v5, s11
	v_add_co_u32_e32 v7, vcc, s10, v8
	v_addc_co_u32_e32 v14, vcc, v5, v9, vcc
	v_ashrrev_i32_e32 v5, 31, v4
	v_lshlrev_b64 v[10:11], 3, v[4:5]
	s_cmp_lg_u64 s[12:13], 0
	v_mov_b32_e32 v5, s9
	v_add_co_u32_e32 v8, vcc, s8, v10
	v_addc_co_u32_e32 v9, vcc, v5, v11, vcc
	s_cselect_b64 s[0:1], -1, 0
	v_mov_b32_e32 v5, s13
	v_add_co_u32_e32 v10, vcc, s12, v10
	v_cndmask_b32_e64 v12, 0, 1, s[0:1]
	s_mov_b64 s[4:5], 0
	v_addc_co_u32_e32 v11, vcc, v5, v11, vcc
	v_mov_b32_e32 v5, 0
	v_cmp_ne_u32_e64 s[0:1], 1, v12
	s_branch .LBB114_11
.LBB114_9:                              ;   in Loop: Header=BB114_11 Depth=1
	global_load_dwordx2 v[16:17], v[10:11], off
	s_waitcnt vmcnt(0)
	v_xor_b32_e32 v18, v16, v17
	v_ffbh_i32_e32 v15, v17
	v_ashrrev_i32_e32 v18, 31, v18
	v_add_u32_e32 v15, -1, v15
	v_add_u32_e32 v18, 32, v18
	v_min_u32_e32 v15, v15, v18
	v_lshlrev_b64 v[16:17], v15, v[16:17]
	v_min_u32_e32 v16, 1, v16
	v_or_b32_e32 v16, v17, v16
	v_cvt_f32_i32_e32 v16, v16
	v_sub_u32_e32 v15, 32, v15
	v_ldexp_f32 v15, v16, v15
	v_div_scale_f32 v16, s[6:7], v15, v15, 1.0
	v_rcp_f32_e32 v17, v16
	v_div_scale_f32 v18, vcc, 1.0, v15, 1.0
	v_fma_f32 v19, -v16, v17, 1.0
	v_fmac_f32_e32 v17, v19, v17
	v_mul_f32_e32 v19, v18, v17
	v_fma_f32 v20, -v16, v19, v18
	v_fmac_f32_e32 v19, v20, v17
	v_fma_f32 v16, -v16, v19, v18
	v_div_fmas_f32 v16, v16, v17, v19
	v_div_fixup_f32 v15, v16, v15, 1.0
.LBB114_10:                             ;   in Loop: Header=BB114_11 Depth=1
	s_waitcnt vmcnt(0)
	v_mul_lo_u32 v16, v13, s16
	v_mul_lo_u32 v17, v12, s17
	v_mad_u64_u32 v[12:13], s[6:7], v12, s16, 0
	v_add3_u32 v13, v13, v17, v16
	v_lshlrev_b64 v[12:13], 1, v[12:13]
	v_add_co_u32_e32 v12, vcc, v7, v12
	v_addc_co_u32_e32 v13, vcc, v14, v13, vcc
	global_load_ushort v12, v[12:13], off
	v_add_co_u32_e32 v8, vcc, 8, v8
	v_add_u32_e32 v4, 1, v4
	v_addc_co_u32_e32 v9, vcc, 0, v9, vcc
	v_cmp_ge_i32_e32 vcc, v4, v6
	s_or_b64 s[4:5], vcc, s[4:5]
	v_add_co_u32_e32 v10, vcc, 8, v10
	v_addc_co_u32_e32 v11, vcc, 0, v11, vcc
	s_waitcnt vmcnt(0)
	v_lshlrev_b32_e32 v12, 16, v12
	v_fmac_f32_e32 v5, v15, v12
	s_andn2_b64 exec, exec, s[4:5]
	s_cbranch_execz .LBB114_13
.LBB114_11:                             ; =>This Inner Loop Header: Depth=1
	global_load_dwordx2 v[12:13], v[8:9], off
	s_and_b64 vcc, exec, s[0:1]
	s_cbranch_vccz .LBB114_9
; %bb.12:                               ;   in Loop: Header=BB114_11 Depth=1
	v_mov_b32_e32 v15, 1.0
	s_branch .LBB114_10
.LBB114_13:
	s_or_b64 exec, exec, s[4:5]
.LBB114_14:
	s_or_b64 exec, exec, s[2:3]
	v_mul_lo_u32 v4, v1, s16
	v_mul_lo_u32 v6, v0, s17
	v_mad_u64_u32 v[0:1], s[0:1], v0, s16, 0
	v_add3_u32 v1, v1, v6, v4
	v_lshlrev_b64 v[0:1], 2, v[0:1]
	v_mov_b32_e32 v4, s23
	v_add_co_u32_e32 v6, vcc, s22, v0
	v_addc_co_u32_e32 v4, vcc, v4, v1, vcc
	v_lshlrev_b64 v[0:1], 2, v[2:3]
	v_add_co_u32_e32 v0, vcc, v6, v0
	v_addc_co_u32_e32 v1, vcc, v4, v1, vcc
	global_store_dword v[0:1], v5, off
.LBB114_15:
	s_endpgm
	.section	.rodata,"a",@progbits
	.p2align	6, 0x0
	.amdhsa_kernel _ZN2at6native12_GLOBAL__N_119compute_grad_weightIN3c108BFloat16ElEEvPKT0_PKT_S7_llS7_PKlPNS_14AccumulateTypeIS8_Lb1EE4typeEl
		.amdhsa_group_segment_fixed_size 0
		.amdhsa_private_segment_fixed_size 0
		.amdhsa_kernarg_size 328
		.amdhsa_user_sgpr_count 6
		.amdhsa_user_sgpr_private_segment_buffer 1
		.amdhsa_user_sgpr_dispatch_ptr 0
		.amdhsa_user_sgpr_queue_ptr 0
		.amdhsa_user_sgpr_kernarg_segment_ptr 1
		.amdhsa_user_sgpr_dispatch_id 0
		.amdhsa_user_sgpr_flat_scratch_init 0
		.amdhsa_user_sgpr_kernarg_preload_length 0
		.amdhsa_user_sgpr_kernarg_preload_offset 0
		.amdhsa_user_sgpr_private_segment_size 0
		.amdhsa_uses_dynamic_stack 0
		.amdhsa_system_sgpr_private_segment_wavefront_offset 0
		.amdhsa_system_sgpr_workgroup_id_x 1
		.amdhsa_system_sgpr_workgroup_id_y 0
		.amdhsa_system_sgpr_workgroup_id_z 0
		.amdhsa_system_sgpr_workgroup_info 0
		.amdhsa_system_vgpr_workitem_id 0
		.amdhsa_next_free_vgpr 21
		.amdhsa_next_free_sgpr 26
		.amdhsa_accum_offset 24
		.amdhsa_reserve_vcc 1
		.amdhsa_reserve_flat_scratch 0
		.amdhsa_float_round_mode_32 0
		.amdhsa_float_round_mode_16_64 0
		.amdhsa_float_denorm_mode_32 3
		.amdhsa_float_denorm_mode_16_64 3
		.amdhsa_dx10_clamp 1
		.amdhsa_ieee_mode 1
		.amdhsa_fp16_overflow 0
		.amdhsa_tg_split 0
		.amdhsa_exception_fp_ieee_invalid_op 0
		.amdhsa_exception_fp_denorm_src 0
		.amdhsa_exception_fp_ieee_div_zero 0
		.amdhsa_exception_fp_ieee_overflow 0
		.amdhsa_exception_fp_ieee_underflow 0
		.amdhsa_exception_fp_ieee_inexact 0
		.amdhsa_exception_int_div_zero 0
	.end_amdhsa_kernel
	.section	.text._ZN2at6native12_GLOBAL__N_119compute_grad_weightIN3c108BFloat16ElEEvPKT0_PKT_S7_llS7_PKlPNS_14AccumulateTypeIS8_Lb1EE4typeEl,"axG",@progbits,_ZN2at6native12_GLOBAL__N_119compute_grad_weightIN3c108BFloat16ElEEvPKT0_PKT_S7_llS7_PKlPNS_14AccumulateTypeIS8_Lb1EE4typeEl,comdat
.Lfunc_end114:
	.size	_ZN2at6native12_GLOBAL__N_119compute_grad_weightIN3c108BFloat16ElEEvPKT0_PKT_S7_llS7_PKlPNS_14AccumulateTypeIS8_Lb1EE4typeEl, .Lfunc_end114-_ZN2at6native12_GLOBAL__N_119compute_grad_weightIN3c108BFloat16ElEEvPKT0_PKT_S7_llS7_PKlPNS_14AccumulateTypeIS8_Lb1EE4typeEl
                                        ; -- End function
	.section	.AMDGPU.csdata,"",@progbits
; Kernel info:
; codeLenInByte = 1484
; NumSgprs: 30
; NumVgprs: 21
; NumAgprs: 0
; TotalNumVgprs: 21
; ScratchSize: 0
; MemoryBound: 0
; FloatMode: 240
; IeeeMode: 1
; LDSByteSize: 0 bytes/workgroup (compile time only)
; SGPRBlocks: 3
; VGPRBlocks: 2
; NumSGPRsForWavesPerEU: 30
; NumVGPRsForWavesPerEU: 21
; AccumOffset: 24
; Occupancy: 8
; WaveLimiterHint : 1
; COMPUTE_PGM_RSRC2:SCRATCH_EN: 0
; COMPUTE_PGM_RSRC2:USER_SGPR: 6
; COMPUTE_PGM_RSRC2:TRAP_HANDLER: 0
; COMPUTE_PGM_RSRC2:TGID_X_EN: 1
; COMPUTE_PGM_RSRC2:TGID_Y_EN: 0
; COMPUTE_PGM_RSRC2:TGID_Z_EN: 0
; COMPUTE_PGM_RSRC2:TIDIG_COMP_CNT: 0
; COMPUTE_PGM_RSRC3_GFX90A:ACCUM_OFFSET: 5
; COMPUTE_PGM_RSRC3_GFX90A:TG_SPLIT: 0
	.section	.text._ZN2at6native12_GLOBAL__N_115sum_and_scatterIN3c108BFloat16ElEEvPKT0_PT_lS7_PKlPKNS_14AccumulateTypeIS8_Lb1EE4typeES7_SB_ll,"axG",@progbits,_ZN2at6native12_GLOBAL__N_115sum_and_scatterIN3c108BFloat16ElEEvPKT0_PT_lS7_PKlPKNS_14AccumulateTypeIS8_Lb1EE4typeES7_SB_ll,comdat
	.globl	_ZN2at6native12_GLOBAL__N_115sum_and_scatterIN3c108BFloat16ElEEvPKT0_PT_lS7_PKlPKNS_14AccumulateTypeIS8_Lb1EE4typeES7_SB_ll ; -- Begin function _ZN2at6native12_GLOBAL__N_115sum_and_scatterIN3c108BFloat16ElEEvPKT0_PT_lS7_PKlPKNS_14AccumulateTypeIS8_Lb1EE4typeES7_SB_ll
	.p2align	8
	.type	_ZN2at6native12_GLOBAL__N_115sum_and_scatterIN3c108BFloat16ElEEvPKT0_PT_lS7_PKlPKNS_14AccumulateTypeIS8_Lb1EE4typeES7_SB_ll,@function
_ZN2at6native12_GLOBAL__N_115sum_and_scatterIN3c108BFloat16ElEEvPKT0_PT_lS7_PKlPKNS_14AccumulateTypeIS8_Lb1EE4typeES7_SB_ll: ; @_ZN2at6native12_GLOBAL__N_115sum_and_scatterIN3c108BFloat16ElEEvPKT0_PT_lS7_PKlPKNS_14AccumulateTypeIS8_Lb1EE4typeES7_SB_ll
; %bb.0:
	s_load_dword s0, s[4:5], 0x5c
	s_load_dwordx4 s[24:27], s[4:5], 0x40
	s_load_dwordx16 s[8:23], s[4:5], 0x0
	v_mov_b32_e32 v1, 0
	v_mov_b32_e32 v2, s6
	s_waitcnt lgkmcnt(0)
	s_and_b32 s0, s0, 0xffff
	v_mad_u64_u32 v[2:3], s[0:1], s0, v2, v[0:1]
	v_or_b32_e32 v5, s27, v3
	v_mov_b32_e32 v4, v1
	v_cmp_ne_u64_e32 vcc, 0, v[4:5]
                                        ; implicit-def: $vgpr6_vgpr7
	s_and_saveexec_b64 s[0:1], vcc
	s_xor_b64 s[2:3], exec, s[0:1]
	s_cbranch_execz .LBB115_2
; %bb.1:
	s_ashr_i32 s4, s27, 31
	s_add_u32 s0, s26, s4
	s_mov_b32 s5, s4
	s_addc_u32 s1, s27, s4
	s_xor_b64 s[6:7], s[0:1], s[4:5]
	v_cvt_f32_u32_e32 v0, s6
	v_cvt_f32_u32_e32 v1, s7
	s_sub_u32 s0, 0, s6
	s_subb_u32 s1, 0, s7
	v_madmk_f32 v0, v1, 0x4f800000, v0
	v_rcp_f32_e32 v0, v0
	v_mul_f32_e32 v0, 0x5f7ffffc, v0
	v_mul_f32_e32 v1, 0x2f800000, v0
	v_trunc_f32_e32 v1, v1
	v_madmk_f32 v0, v1, 0xcf800000, v0
	v_cvt_u32_f32_e32 v1, v1
	v_cvt_u32_f32_e32 v0, v0
	v_mul_lo_u32 v4, s0, v1
	v_mul_hi_u32 v6, s0, v0
	v_mul_lo_u32 v5, s1, v0
	v_add_u32_e32 v4, v6, v4
	v_mul_lo_u32 v7, s0, v0
	v_add_u32_e32 v4, v4, v5
	v_mul_lo_u32 v6, v0, v4
	v_mul_hi_u32 v8, v0, v7
	v_mul_hi_u32 v5, v0, v4
	v_add_co_u32_e32 v6, vcc, v8, v6
	v_addc_co_u32_e32 v5, vcc, 0, v5, vcc
	v_mul_hi_u32 v9, v1, v7
	v_mul_lo_u32 v7, v1, v7
	v_add_co_u32_e32 v6, vcc, v6, v7
	v_mul_hi_u32 v8, v1, v4
	v_addc_co_u32_e32 v5, vcc, v5, v9, vcc
	v_addc_co_u32_e32 v6, vcc, 0, v8, vcc
	v_mul_lo_u32 v4, v1, v4
	v_add_co_u32_e32 v4, vcc, v5, v4
	v_addc_co_u32_e32 v5, vcc, 0, v6, vcc
	v_add_co_u32_e32 v0, vcc, v0, v4
	v_addc_co_u32_e32 v1, vcc, v1, v5, vcc
	v_mul_lo_u32 v4, s0, v1
	v_mul_hi_u32 v5, s0, v0
	v_add_u32_e32 v4, v5, v4
	v_mul_lo_u32 v5, s1, v0
	v_add_u32_e32 v4, v4, v5
	v_mul_lo_u32 v6, s0, v0
	v_mul_hi_u32 v7, v1, v6
	v_mul_lo_u32 v8, v1, v6
	v_mul_lo_u32 v10, v0, v4
	v_mul_hi_u32 v6, v0, v6
	v_mul_hi_u32 v9, v0, v4
	v_add_co_u32_e32 v6, vcc, v6, v10
	v_addc_co_u32_e32 v9, vcc, 0, v9, vcc
	v_add_co_u32_e32 v6, vcc, v6, v8
	v_mul_hi_u32 v5, v1, v4
	v_addc_co_u32_e32 v6, vcc, v9, v7, vcc
	v_addc_co_u32_e32 v5, vcc, 0, v5, vcc
	v_mul_lo_u32 v4, v1, v4
	v_add_co_u32_e32 v4, vcc, v6, v4
	v_addc_co_u32_e32 v5, vcc, 0, v5, vcc
	v_add_co_u32_e32 v4, vcc, v0, v4
	v_addc_co_u32_e32 v5, vcc, v1, v5, vcc
	v_ashrrev_i32_e32 v6, 31, v3
	v_add_co_u32_e32 v0, vcc, v2, v6
	v_addc_co_u32_e32 v1, vcc, v3, v6, vcc
	v_xor_b32_e32 v8, v0, v6
	v_xor_b32_e32 v7, v1, v6
	v_mad_u64_u32 v[0:1], s[0:1], v8, v5, 0
	v_mul_hi_u32 v9, v8, v4
	v_add_co_u32_e32 v9, vcc, v9, v0
	v_addc_co_u32_e32 v10, vcc, 0, v1, vcc
	v_mad_u64_u32 v[0:1], s[0:1], v7, v5, 0
	v_mad_u64_u32 v[4:5], s[0:1], v7, v4, 0
	v_add_co_u32_e32 v4, vcc, v9, v4
	v_addc_co_u32_e32 v4, vcc, v10, v5, vcc
	v_addc_co_u32_e32 v1, vcc, 0, v1, vcc
	v_add_co_u32_e32 v4, vcc, v4, v0
	v_addc_co_u32_e32 v5, vcc, 0, v1, vcc
	v_mul_lo_u32 v9, s7, v4
	v_mul_lo_u32 v10, s6, v5
	v_mad_u64_u32 v[0:1], s[0:1], s6, v4, 0
	v_add3_u32 v1, v1, v10, v9
	v_sub_u32_e32 v9, v7, v1
	v_mov_b32_e32 v10, s7
	v_sub_co_u32_e32 v0, vcc, v8, v0
	v_subb_co_u32_e64 v8, s[0:1], v9, v10, vcc
	v_subrev_co_u32_e64 v9, s[0:1], s6, v0
	v_subbrev_co_u32_e64 v8, s[0:1], 0, v8, s[0:1]
	v_cmp_le_u32_e64 s[0:1], s7, v8
	v_cndmask_b32_e64 v10, 0, -1, s[0:1]
	v_cmp_le_u32_e64 s[0:1], s6, v9
	v_cndmask_b32_e64 v9, 0, -1, s[0:1]
	v_cmp_eq_u32_e64 s[0:1], s7, v8
	v_cndmask_b32_e64 v8, v10, v9, s[0:1]
	v_add_co_u32_e64 v9, s[0:1], 2, v4
	v_subb_co_u32_e32 v1, vcc, v7, v1, vcc
	v_addc_co_u32_e64 v10, s[0:1], 0, v5, s[0:1]
	v_cmp_le_u32_e32 vcc, s7, v1
	v_add_co_u32_e64 v11, s[0:1], 1, v4
	v_cndmask_b32_e64 v7, 0, -1, vcc
	v_cmp_le_u32_e32 vcc, s6, v0
	v_addc_co_u32_e64 v12, s[0:1], 0, v5, s[0:1]
	v_cndmask_b32_e64 v0, 0, -1, vcc
	v_cmp_eq_u32_e32 vcc, s7, v1
	v_cmp_ne_u32_e64 s[0:1], 0, v8
	v_cndmask_b32_e32 v0, v7, v0, vcc
	v_cmp_ne_u32_e32 vcc, 0, v0
	v_cndmask_b32_e64 v1, v11, v9, s[0:1]
	v_cndmask_b32_e64 v8, v12, v10, s[0:1]
	v_cndmask_b32_e32 v1, v4, v1, vcc
	v_xor_b32_e32 v4, s4, v6
	v_cndmask_b32_e32 v0, v5, v8, vcc
	v_xor_b32_e32 v1, v1, v4
	v_xor_b32_e32 v0, v0, v4
	v_sub_co_u32_e32 v6, vcc, v1, v4
	v_subb_co_u32_e32 v7, vcc, v0, v4, vcc
.LBB115_2:
	s_or_saveexec_b64 s[0:1], s[2:3]
	s_load_dwordx2 s[2:3], s[16:17], 0x0
	s_xor_b64 exec, exec, s[0:1]
	s_cbranch_execz .LBB115_4
; %bb.3:
	v_cvt_f32_u32_e32 v0, s26
	s_sub_i32 s4, 0, s26
	v_mov_b32_e32 v7, 0
	v_rcp_iflag_f32_e32 v0, v0
	v_mul_f32_e32 v0, 0x4f7ffffe, v0
	v_cvt_u32_f32_e32 v0, v0
	v_mul_lo_u32 v1, s4, v0
	v_mul_hi_u32 v1, v0, v1
	v_add_u32_e32 v0, v0, v1
	v_mul_hi_u32 v0, v2, v0
	v_mul_lo_u32 v1, v0, s26
	v_sub_u32_e32 v1, v2, v1
	v_add_u32_e32 v4, 1, v0
	v_subrev_u32_e32 v5, s26, v1
	v_cmp_le_u32_e32 vcc, s26, v1
	v_cndmask_b32_e32 v1, v1, v5, vcc
	v_cndmask_b32_e32 v0, v0, v4, vcc
	v_add_u32_e32 v4, 1, v0
	v_cmp_le_u32_e32 vcc, s26, v1
	v_cndmask_b32_e32 v6, v0, v4, vcc
.LBB115_4:
	s_or_b64 exec, exec, s[0:1]
	v_mul_lo_u32 v0, v7, s26
	v_mul_lo_u32 v1, v6, s27
	v_mad_u64_u32 v[8:9], s[0:1], v6, s26, 0
	v_add3_u32 v9, v9, v1, v0
	v_sub_co_u32_e32 v0, vcc, v2, v8
	v_subb_co_u32_e32 v1, vcc, v3, v9, vcc
	v_cmp_gt_i64_e32 vcc, s[12:13], v[0:1]
	s_waitcnt lgkmcnt(0)
	v_cmp_gt_i64_e64 s[0:1], s[2:3], v[6:7]
	s_and_b64 s[0:1], vcc, s[0:1]
	s_and_saveexec_b64 s[4:5], s[0:1]
	s_cbranch_execz .LBB115_11
; %bb.5:
	v_lshlrev_b64 v[4:5], 3, v[6:7]
	v_mov_b32_e32 v10, s21
	v_add_co_u32_e32 v12, vcc, s20, v4
	v_addc_co_u32_e32 v13, vcc, v10, v5, vcc
	s_add_u32 s0, s2, -1
	v_add_co_u32_e32 v11, vcc, 8, v12
	global_load_dword v10, v[12:13], off
	s_addc_u32 s1, s3, -1
	v_addc_co_u32_e32 v12, vcc, 0, v13, vcc
	v_mov_b32_e32 v13, s23
	v_cmp_eq_u64_e32 vcc, s[0:1], v[6:7]
	v_mov_b32_e32 v6, s22
	v_cndmask_b32_e32 v7, v12, v13, vcc
	v_cndmask_b32_e32 v6, v11, v6, vcc
	global_load_dword v7, v[6:7], off
	v_mov_b32_e32 v6, 0
	s_waitcnt vmcnt(0)
	v_cmp_lt_i32_e32 vcc, v10, v7
	s_and_saveexec_b64 s[0:1], vcc
	s_cbranch_execz .LBB115_9
; %bb.6:
	v_ashrrev_i32_e32 v6, 31, v10
	v_mul_lo_u32 v11, s13, v10
	v_mul_lo_u32 v6, s12, v6
	v_mad_u64_u32 v[12:13], s[2:3], s12, v10, 0
	v_add3_u32 v13, v13, v6, v11
	v_lshlrev_b64 v[12:13], 2, v[12:13]
	v_lshlrev_b64 v[2:3], 2, v[2:3]
	v_add_co_u32_e32 v6, vcc, v12, v2
	v_addc_co_u32_e32 v11, vcc, v13, v3, vcc
	v_lshlrev_b64 v[2:3], 2, v[8:9]
	v_sub_co_u32_e32 v2, vcc, v6, v2
	v_subb_co_u32_e32 v3, vcc, v11, v3, vcc
	v_mov_b32_e32 v6, s19
	v_add_co_u32_e32 v2, vcc, s18, v2
	s_lshl_b64 s[4:5], s[12:13], 2
	v_addc_co_u32_e32 v3, vcc, v6, v3, vcc
	s_mov_b64 s[2:3], 0
	v_mov_b32_e32 v6, 0
	v_mov_b32_e32 v8, s5
.LBB115_7:                              ; =>This Inner Loop Header: Depth=1
	global_load_dword v9, v[2:3], off
	v_add_co_u32_e32 v2, vcc, s4, v2
	v_add_u32_e32 v10, 1, v10
	v_addc_co_u32_e32 v3, vcc, v3, v8, vcc
	v_cmp_ge_i32_e32 vcc, v10, v7
	s_or_b64 s[2:3], vcc, s[2:3]
	s_waitcnt vmcnt(0)
	v_add_f32_e32 v6, v6, v9
	s_andn2_b64 exec, exec, s[2:3]
	s_cbranch_execnz .LBB115_7
; %bb.8:
	s_or_b64 exec, exec, s[2:3]
.LBB115_9:
	s_or_b64 exec, exec, s[0:1]
	v_mov_b32_e32 v3, s15
	v_add_co_u32_e32 v2, vcc, s14, v4
	v_addc_co_u32_e32 v3, vcc, v3, v5, vcc
	global_load_dwordx2 v[2:3], v[2:3], off
	v_mov_b32_e32 v4, s9
	s_waitcnt vmcnt(0)
	v_lshlrev_b64 v[2:3], 3, v[2:3]
	v_add_co_u32_e32 v2, vcc, s8, v2
	v_addc_co_u32_e32 v3, vcc, v4, v3, vcc
	global_load_dwordx2 v[2:3], v[2:3], off
	s_waitcnt vmcnt(0)
	v_cmp_ne_u64_e32 vcc, s[24:25], v[2:3]
	s_and_b64 exec, exec, vcc
	s_cbranch_execz .LBB115_11
; %bb.10:
	v_bfe_u32 v4, v6, 16, 1
	s_movk_i32 s0, 0x7fff
	v_add3_u32 v4, v6, v4, s0
	v_lshrrev_b32_e32 v4, 16, v4
	v_mov_b32_e32 v5, 0x7fc0
	v_cmp_o_f32_e32 vcc, v6, v6
	v_cndmask_b32_e32 v4, v5, v4, vcc
	v_mul_lo_u32 v5, v3, s12
	v_mul_lo_u32 v6, v2, s13
	v_mad_u64_u32 v[2:3], s[0:1], v2, s12, 0
	v_add3_u32 v3, v3, v6, v5
	v_lshlrev_b64 v[2:3], 1, v[2:3]
	v_mov_b32_e32 v5, s11
	v_add_co_u32_e32 v2, vcc, s10, v2
	v_addc_co_u32_e32 v3, vcc, v5, v3, vcc
	v_lshlrev_b64 v[0:1], 1, v[0:1]
	v_add_co_u32_e32 v0, vcc, v2, v0
	v_addc_co_u32_e32 v1, vcc, v3, v1, vcc
	global_store_short v[0:1], v4, off
.LBB115_11:
	s_endpgm
	.section	.rodata,"a",@progbits
	.p2align	6, 0x0
	.amdhsa_kernel _ZN2at6native12_GLOBAL__N_115sum_and_scatterIN3c108BFloat16ElEEvPKT0_PT_lS7_PKlPKNS_14AccumulateTypeIS8_Lb1EE4typeES7_SB_ll
		.amdhsa_group_segment_fixed_size 0
		.amdhsa_private_segment_fixed_size 0
		.amdhsa_kernarg_size 336
		.amdhsa_user_sgpr_count 6
		.amdhsa_user_sgpr_private_segment_buffer 1
		.amdhsa_user_sgpr_dispatch_ptr 0
		.amdhsa_user_sgpr_queue_ptr 0
		.amdhsa_user_sgpr_kernarg_segment_ptr 1
		.amdhsa_user_sgpr_dispatch_id 0
		.amdhsa_user_sgpr_flat_scratch_init 0
		.amdhsa_user_sgpr_kernarg_preload_length 0
		.amdhsa_user_sgpr_kernarg_preload_offset 0
		.amdhsa_user_sgpr_private_segment_size 0
		.amdhsa_uses_dynamic_stack 0
		.amdhsa_system_sgpr_private_segment_wavefront_offset 0
		.amdhsa_system_sgpr_workgroup_id_x 1
		.amdhsa_system_sgpr_workgroup_id_y 0
		.amdhsa_system_sgpr_workgroup_id_z 0
		.amdhsa_system_sgpr_workgroup_info 0
		.amdhsa_system_vgpr_workitem_id 0
		.amdhsa_next_free_vgpr 14
		.amdhsa_next_free_sgpr 28
		.amdhsa_accum_offset 16
		.amdhsa_reserve_vcc 1
		.amdhsa_reserve_flat_scratch 0
		.amdhsa_float_round_mode_32 0
		.amdhsa_float_round_mode_16_64 0
		.amdhsa_float_denorm_mode_32 3
		.amdhsa_float_denorm_mode_16_64 3
		.amdhsa_dx10_clamp 1
		.amdhsa_ieee_mode 1
		.amdhsa_fp16_overflow 0
		.amdhsa_tg_split 0
		.amdhsa_exception_fp_ieee_invalid_op 0
		.amdhsa_exception_fp_denorm_src 0
		.amdhsa_exception_fp_ieee_div_zero 0
		.amdhsa_exception_fp_ieee_overflow 0
		.amdhsa_exception_fp_ieee_underflow 0
		.amdhsa_exception_fp_ieee_inexact 0
		.amdhsa_exception_int_div_zero 0
	.end_amdhsa_kernel
	.section	.text._ZN2at6native12_GLOBAL__N_115sum_and_scatterIN3c108BFloat16ElEEvPKT0_PT_lS7_PKlPKNS_14AccumulateTypeIS8_Lb1EE4typeES7_SB_ll,"axG",@progbits,_ZN2at6native12_GLOBAL__N_115sum_and_scatterIN3c108BFloat16ElEEvPKT0_PT_lS7_PKlPKNS_14AccumulateTypeIS8_Lb1EE4typeES7_SB_ll,comdat
.Lfunc_end115:
	.size	_ZN2at6native12_GLOBAL__N_115sum_and_scatterIN3c108BFloat16ElEEvPKT0_PT_lS7_PKlPKNS_14AccumulateTypeIS8_Lb1EE4typeES7_SB_ll, .Lfunc_end115-_ZN2at6native12_GLOBAL__N_115sum_and_scatterIN3c108BFloat16ElEEvPKT0_PT_lS7_PKlPKNS_14AccumulateTypeIS8_Lb1EE4typeES7_SB_ll
                                        ; -- End function
	.section	.AMDGPU.csdata,"",@progbits
; Kernel info:
; codeLenInByte = 1380
; NumSgprs: 32
; NumVgprs: 14
; NumAgprs: 0
; TotalNumVgprs: 14
; ScratchSize: 0
; MemoryBound: 0
; FloatMode: 240
; IeeeMode: 1
; LDSByteSize: 0 bytes/workgroup (compile time only)
; SGPRBlocks: 3
; VGPRBlocks: 1
; NumSGPRsForWavesPerEU: 32
; NumVGPRsForWavesPerEU: 14
; AccumOffset: 16
; Occupancy: 8
; WaveLimiterHint : 1
; COMPUTE_PGM_RSRC2:SCRATCH_EN: 0
; COMPUTE_PGM_RSRC2:USER_SGPR: 6
; COMPUTE_PGM_RSRC2:TRAP_HANDLER: 0
; COMPUTE_PGM_RSRC2:TGID_X_EN: 1
; COMPUTE_PGM_RSRC2:TGID_Y_EN: 0
; COMPUTE_PGM_RSRC2:TGID_Z_EN: 0
; COMPUTE_PGM_RSRC2:TIDIG_COMP_CNT: 0
; COMPUTE_PGM_RSRC3_GFX90A:ACCUM_OFFSET: 3
; COMPUTE_PGM_RSRC3_GFX90A:TG_SPLIT: 0
	.text
	.p2alignl 6, 3212836864
	.fill 256, 4, 3212836864
	.type	__hip_cuid_c6f3d4aae61beff0,@object ; @__hip_cuid_c6f3d4aae61beff0
	.section	.bss,"aw",@nobits
	.globl	__hip_cuid_c6f3d4aae61beff0
__hip_cuid_c6f3d4aae61beff0:
	.byte	0                               ; 0x0
	.size	__hip_cuid_c6f3d4aae61beff0, 1

	.ident	"AMD clang version 19.0.0git (https://github.com/RadeonOpenCompute/llvm-project roc-6.4.0 25133 c7fe45cf4b819c5991fe208aaa96edf142730f1d)"
	.section	".note.GNU-stack","",@progbits
	.addrsig
	.addrsig_sym __hip_cuid_c6f3d4aae61beff0
	.amdgpu_metadata
---
amdhsa.kernels:
  - .agpr_count:     0
    .args:
      - .address_space:  global
        .offset:         0
        .size:           8
        .value_kind:     global_buffer
      - .offset:         8
        .size:           4
        .value_kind:     by_value
      - .offset:         12
        .size:           1
        .value_kind:     by_value
      - .offset:         16
        .size:           4
        .value_kind:     by_value
      - .address_space:  global
        .offset:         24
        .size:           8
        .value_kind:     global_buffer
      - .offset:         32
        .size:           4
        .value_kind:     hidden_block_count_x
      - .offset:         36
        .size:           4
        .value_kind:     hidden_block_count_y
      - .offset:         40
        .size:           4
        .value_kind:     hidden_block_count_z
      - .offset:         44
        .size:           2
        .value_kind:     hidden_group_size_x
      - .offset:         46
        .size:           2
        .value_kind:     hidden_group_size_y
      - .offset:         48
        .size:           2
        .value_kind:     hidden_group_size_z
      - .offset:         50
        .size:           2
        .value_kind:     hidden_remainder_x
      - .offset:         52
        .size:           2
        .value_kind:     hidden_remainder_y
      - .offset:         54
        .size:           2
        .value_kind:     hidden_remainder_z
      - .offset:         72
        .size:           8
        .value_kind:     hidden_global_offset_x
      - .offset:         80
        .size:           8
        .value_kind:     hidden_global_offset_y
      - .offset:         88
        .size:           8
        .value_kind:     hidden_global_offset_z
      - .offset:         96
        .size:           2
        .value_kind:     hidden_grid_dims
    .group_segment_fixed_size: 0
    .kernarg_segment_align: 8
    .kernarg_segment_size: 288
    .language:       OpenCL C
    .language_version:
      - 2
      - 0
    .max_flat_workgroup_size: 256
    .name:           _ZN7rocprim17ROCPRIM_400000_NS6detail31init_lookback_scan_state_kernelINS1_19lookback_scan_stateIjLb0ELb1EEENS1_16block_id_wrapperIjLb0EEEEEvT_jT0_jPNS7_10value_typeE
    .private_segment_fixed_size: 0
    .sgpr_count:     13
    .sgpr_spill_count: 0
    .symbol:         _ZN7rocprim17ROCPRIM_400000_NS6detail31init_lookback_scan_state_kernelINS1_19lookback_scan_stateIjLb0ELb1EEENS1_16block_id_wrapperIjLb0EEEEEvT_jT0_jPNS7_10value_typeE.kd
    .uniform_work_group_size: 1
    .uses_dynamic_stack: false
    .vgpr_count:     6
    .vgpr_spill_count: 0
    .wavefront_size: 64
  - .agpr_count:     0
    .args:
      - .offset:         0
        .size:           112
        .value_kind:     by_value
    .group_segment_fixed_size: 0
    .kernarg_segment_align: 8
    .kernarg_segment_size: 112
    .language:       OpenCL C
    .language_version:
      - 2
      - 0
    .max_flat_workgroup_size: 256
    .name:           _ZN7rocprim17ROCPRIM_400000_NS6detail17trampoline_kernelINS0_14default_configENS1_25partition_config_selectorILNS1_17partition_subalgoE9EiibEEZZNS1_14partition_implILS5_9ELb0ES3_jPKiN6thrust23THRUST_200600_302600_NS17counting_iteratorIiNSB_11use_defaultESD_SD_EEPNS0_10empty_typeENS0_5tupleIJPiSF_EEENSH_IJSI_SG_EEENS0_18inequality_wrapperIN6hipcub16HIPCUB_304000_NS8EqualityEEEPlJSF_EEE10hipError_tPvRmT3_T4_T5_T6_T7_T9_mT8_P12ihipStream_tbDpT10_ENKUlT_T0_E_clISt17integral_constantIbLb0EES1A_EEDaS15_S16_EUlS15_E_NS1_11comp_targetILNS1_3genE0ELNS1_11target_archE4294967295ELNS1_3gpuE0ELNS1_3repE0EEENS1_30default_config_static_selectorELNS0_4arch9wavefront6targetE1EEEvT1_
    .private_segment_fixed_size: 0
    .sgpr_count:     4
    .sgpr_spill_count: 0
    .symbol:         _ZN7rocprim17ROCPRIM_400000_NS6detail17trampoline_kernelINS0_14default_configENS1_25partition_config_selectorILNS1_17partition_subalgoE9EiibEEZZNS1_14partition_implILS5_9ELb0ES3_jPKiN6thrust23THRUST_200600_302600_NS17counting_iteratorIiNSB_11use_defaultESD_SD_EEPNS0_10empty_typeENS0_5tupleIJPiSF_EEENSH_IJSI_SG_EEENS0_18inequality_wrapperIN6hipcub16HIPCUB_304000_NS8EqualityEEEPlJSF_EEE10hipError_tPvRmT3_T4_T5_T6_T7_T9_mT8_P12ihipStream_tbDpT10_ENKUlT_T0_E_clISt17integral_constantIbLb0EES1A_EEDaS15_S16_EUlS15_E_NS1_11comp_targetILNS1_3genE0ELNS1_11target_archE4294967295ELNS1_3gpuE0ELNS1_3repE0EEENS1_30default_config_static_selectorELNS0_4arch9wavefront6targetE1EEEvT1_.kd
    .uniform_work_group_size: 1
    .uses_dynamic_stack: false
    .vgpr_count:     0
    .vgpr_spill_count: 0
    .wavefront_size: 64
  - .agpr_count:     0
    .args:
      - .offset:         0
        .size:           112
        .value_kind:     by_value
    .group_segment_fixed_size: 0
    .kernarg_segment_align: 8
    .kernarg_segment_size: 112
    .language:       OpenCL C
    .language_version:
      - 2
      - 0
    .max_flat_workgroup_size: 512
    .name:           _ZN7rocprim17ROCPRIM_400000_NS6detail17trampoline_kernelINS0_14default_configENS1_25partition_config_selectorILNS1_17partition_subalgoE9EiibEEZZNS1_14partition_implILS5_9ELb0ES3_jPKiN6thrust23THRUST_200600_302600_NS17counting_iteratorIiNSB_11use_defaultESD_SD_EEPNS0_10empty_typeENS0_5tupleIJPiSF_EEENSH_IJSI_SG_EEENS0_18inequality_wrapperIN6hipcub16HIPCUB_304000_NS8EqualityEEEPlJSF_EEE10hipError_tPvRmT3_T4_T5_T6_T7_T9_mT8_P12ihipStream_tbDpT10_ENKUlT_T0_E_clISt17integral_constantIbLb0EES1A_EEDaS15_S16_EUlS15_E_NS1_11comp_targetILNS1_3genE5ELNS1_11target_archE942ELNS1_3gpuE9ELNS1_3repE0EEENS1_30default_config_static_selectorELNS0_4arch9wavefront6targetE1EEEvT1_
    .private_segment_fixed_size: 0
    .sgpr_count:     4
    .sgpr_spill_count: 0
    .symbol:         _ZN7rocprim17ROCPRIM_400000_NS6detail17trampoline_kernelINS0_14default_configENS1_25partition_config_selectorILNS1_17partition_subalgoE9EiibEEZZNS1_14partition_implILS5_9ELb0ES3_jPKiN6thrust23THRUST_200600_302600_NS17counting_iteratorIiNSB_11use_defaultESD_SD_EEPNS0_10empty_typeENS0_5tupleIJPiSF_EEENSH_IJSI_SG_EEENS0_18inequality_wrapperIN6hipcub16HIPCUB_304000_NS8EqualityEEEPlJSF_EEE10hipError_tPvRmT3_T4_T5_T6_T7_T9_mT8_P12ihipStream_tbDpT10_ENKUlT_T0_E_clISt17integral_constantIbLb0EES1A_EEDaS15_S16_EUlS15_E_NS1_11comp_targetILNS1_3genE5ELNS1_11target_archE942ELNS1_3gpuE9ELNS1_3repE0EEENS1_30default_config_static_selectorELNS0_4arch9wavefront6targetE1EEEvT1_.kd
    .uniform_work_group_size: 1
    .uses_dynamic_stack: false
    .vgpr_count:     0
    .vgpr_spill_count: 0
    .wavefront_size: 64
  - .agpr_count:     0
    .args:
      - .offset:         0
        .size:           112
        .value_kind:     by_value
    .group_segment_fixed_size: 5384
    .kernarg_segment_align: 8
    .kernarg_segment_size: 112
    .language:       OpenCL C
    .language_version:
      - 2
      - 0
    .max_flat_workgroup_size: 192
    .name:           _ZN7rocprim17ROCPRIM_400000_NS6detail17trampoline_kernelINS0_14default_configENS1_25partition_config_selectorILNS1_17partition_subalgoE9EiibEEZZNS1_14partition_implILS5_9ELb0ES3_jPKiN6thrust23THRUST_200600_302600_NS17counting_iteratorIiNSB_11use_defaultESD_SD_EEPNS0_10empty_typeENS0_5tupleIJPiSF_EEENSH_IJSI_SG_EEENS0_18inequality_wrapperIN6hipcub16HIPCUB_304000_NS8EqualityEEEPlJSF_EEE10hipError_tPvRmT3_T4_T5_T6_T7_T9_mT8_P12ihipStream_tbDpT10_ENKUlT_T0_E_clISt17integral_constantIbLb0EES1A_EEDaS15_S16_EUlS15_E_NS1_11comp_targetILNS1_3genE4ELNS1_11target_archE910ELNS1_3gpuE8ELNS1_3repE0EEENS1_30default_config_static_selectorELNS0_4arch9wavefront6targetE1EEEvT1_
    .private_segment_fixed_size: 0
    .sgpr_count:     44
    .sgpr_spill_count: 0
    .symbol:         _ZN7rocprim17ROCPRIM_400000_NS6detail17trampoline_kernelINS0_14default_configENS1_25partition_config_selectorILNS1_17partition_subalgoE9EiibEEZZNS1_14partition_implILS5_9ELb0ES3_jPKiN6thrust23THRUST_200600_302600_NS17counting_iteratorIiNSB_11use_defaultESD_SD_EEPNS0_10empty_typeENS0_5tupleIJPiSF_EEENSH_IJSI_SG_EEENS0_18inequality_wrapperIN6hipcub16HIPCUB_304000_NS8EqualityEEEPlJSF_EEE10hipError_tPvRmT3_T4_T5_T6_T7_T9_mT8_P12ihipStream_tbDpT10_ENKUlT_T0_E_clISt17integral_constantIbLb0EES1A_EEDaS15_S16_EUlS15_E_NS1_11comp_targetILNS1_3genE4ELNS1_11target_archE910ELNS1_3gpuE8ELNS1_3repE0EEENS1_30default_config_static_selectorELNS0_4arch9wavefront6targetE1EEEvT1_.kd
    .uniform_work_group_size: 1
    .uses_dynamic_stack: false
    .vgpr_count:     52
    .vgpr_spill_count: 0
    .wavefront_size: 64
  - .agpr_count:     0
    .args:
      - .offset:         0
        .size:           112
        .value_kind:     by_value
    .group_segment_fixed_size: 0
    .kernarg_segment_align: 8
    .kernarg_segment_size: 112
    .language:       OpenCL C
    .language_version:
      - 2
      - 0
    .max_flat_workgroup_size: 256
    .name:           _ZN7rocprim17ROCPRIM_400000_NS6detail17trampoline_kernelINS0_14default_configENS1_25partition_config_selectorILNS1_17partition_subalgoE9EiibEEZZNS1_14partition_implILS5_9ELb0ES3_jPKiN6thrust23THRUST_200600_302600_NS17counting_iteratorIiNSB_11use_defaultESD_SD_EEPNS0_10empty_typeENS0_5tupleIJPiSF_EEENSH_IJSI_SG_EEENS0_18inequality_wrapperIN6hipcub16HIPCUB_304000_NS8EqualityEEEPlJSF_EEE10hipError_tPvRmT3_T4_T5_T6_T7_T9_mT8_P12ihipStream_tbDpT10_ENKUlT_T0_E_clISt17integral_constantIbLb0EES1A_EEDaS15_S16_EUlS15_E_NS1_11comp_targetILNS1_3genE3ELNS1_11target_archE908ELNS1_3gpuE7ELNS1_3repE0EEENS1_30default_config_static_selectorELNS0_4arch9wavefront6targetE1EEEvT1_
    .private_segment_fixed_size: 0
    .sgpr_count:     4
    .sgpr_spill_count: 0
    .symbol:         _ZN7rocprim17ROCPRIM_400000_NS6detail17trampoline_kernelINS0_14default_configENS1_25partition_config_selectorILNS1_17partition_subalgoE9EiibEEZZNS1_14partition_implILS5_9ELb0ES3_jPKiN6thrust23THRUST_200600_302600_NS17counting_iteratorIiNSB_11use_defaultESD_SD_EEPNS0_10empty_typeENS0_5tupleIJPiSF_EEENSH_IJSI_SG_EEENS0_18inequality_wrapperIN6hipcub16HIPCUB_304000_NS8EqualityEEEPlJSF_EEE10hipError_tPvRmT3_T4_T5_T6_T7_T9_mT8_P12ihipStream_tbDpT10_ENKUlT_T0_E_clISt17integral_constantIbLb0EES1A_EEDaS15_S16_EUlS15_E_NS1_11comp_targetILNS1_3genE3ELNS1_11target_archE908ELNS1_3gpuE7ELNS1_3repE0EEENS1_30default_config_static_selectorELNS0_4arch9wavefront6targetE1EEEvT1_.kd
    .uniform_work_group_size: 1
    .uses_dynamic_stack: false
    .vgpr_count:     0
    .vgpr_spill_count: 0
    .wavefront_size: 64
  - .agpr_count:     0
    .args:
      - .offset:         0
        .size:           112
        .value_kind:     by_value
    .group_segment_fixed_size: 0
    .kernarg_segment_align: 8
    .kernarg_segment_size: 112
    .language:       OpenCL C
    .language_version:
      - 2
      - 0
    .max_flat_workgroup_size: 256
    .name:           _ZN7rocprim17ROCPRIM_400000_NS6detail17trampoline_kernelINS0_14default_configENS1_25partition_config_selectorILNS1_17partition_subalgoE9EiibEEZZNS1_14partition_implILS5_9ELb0ES3_jPKiN6thrust23THRUST_200600_302600_NS17counting_iteratorIiNSB_11use_defaultESD_SD_EEPNS0_10empty_typeENS0_5tupleIJPiSF_EEENSH_IJSI_SG_EEENS0_18inequality_wrapperIN6hipcub16HIPCUB_304000_NS8EqualityEEEPlJSF_EEE10hipError_tPvRmT3_T4_T5_T6_T7_T9_mT8_P12ihipStream_tbDpT10_ENKUlT_T0_E_clISt17integral_constantIbLb0EES1A_EEDaS15_S16_EUlS15_E_NS1_11comp_targetILNS1_3genE2ELNS1_11target_archE906ELNS1_3gpuE6ELNS1_3repE0EEENS1_30default_config_static_selectorELNS0_4arch9wavefront6targetE1EEEvT1_
    .private_segment_fixed_size: 0
    .sgpr_count:     4
    .sgpr_spill_count: 0
    .symbol:         _ZN7rocprim17ROCPRIM_400000_NS6detail17trampoline_kernelINS0_14default_configENS1_25partition_config_selectorILNS1_17partition_subalgoE9EiibEEZZNS1_14partition_implILS5_9ELb0ES3_jPKiN6thrust23THRUST_200600_302600_NS17counting_iteratorIiNSB_11use_defaultESD_SD_EEPNS0_10empty_typeENS0_5tupleIJPiSF_EEENSH_IJSI_SG_EEENS0_18inequality_wrapperIN6hipcub16HIPCUB_304000_NS8EqualityEEEPlJSF_EEE10hipError_tPvRmT3_T4_T5_T6_T7_T9_mT8_P12ihipStream_tbDpT10_ENKUlT_T0_E_clISt17integral_constantIbLb0EES1A_EEDaS15_S16_EUlS15_E_NS1_11comp_targetILNS1_3genE2ELNS1_11target_archE906ELNS1_3gpuE6ELNS1_3repE0EEENS1_30default_config_static_selectorELNS0_4arch9wavefront6targetE1EEEvT1_.kd
    .uniform_work_group_size: 1
    .uses_dynamic_stack: false
    .vgpr_count:     0
    .vgpr_spill_count: 0
    .wavefront_size: 64
  - .agpr_count:     0
    .args:
      - .offset:         0
        .size:           112
        .value_kind:     by_value
    .group_segment_fixed_size: 0
    .kernarg_segment_align: 8
    .kernarg_segment_size: 112
    .language:       OpenCL C
    .language_version:
      - 2
      - 0
    .max_flat_workgroup_size: 384
    .name:           _ZN7rocprim17ROCPRIM_400000_NS6detail17trampoline_kernelINS0_14default_configENS1_25partition_config_selectorILNS1_17partition_subalgoE9EiibEEZZNS1_14partition_implILS5_9ELb0ES3_jPKiN6thrust23THRUST_200600_302600_NS17counting_iteratorIiNSB_11use_defaultESD_SD_EEPNS0_10empty_typeENS0_5tupleIJPiSF_EEENSH_IJSI_SG_EEENS0_18inequality_wrapperIN6hipcub16HIPCUB_304000_NS8EqualityEEEPlJSF_EEE10hipError_tPvRmT3_T4_T5_T6_T7_T9_mT8_P12ihipStream_tbDpT10_ENKUlT_T0_E_clISt17integral_constantIbLb0EES1A_EEDaS15_S16_EUlS15_E_NS1_11comp_targetILNS1_3genE10ELNS1_11target_archE1200ELNS1_3gpuE4ELNS1_3repE0EEENS1_30default_config_static_selectorELNS0_4arch9wavefront6targetE1EEEvT1_
    .private_segment_fixed_size: 0
    .sgpr_count:     4
    .sgpr_spill_count: 0
    .symbol:         _ZN7rocprim17ROCPRIM_400000_NS6detail17trampoline_kernelINS0_14default_configENS1_25partition_config_selectorILNS1_17partition_subalgoE9EiibEEZZNS1_14partition_implILS5_9ELb0ES3_jPKiN6thrust23THRUST_200600_302600_NS17counting_iteratorIiNSB_11use_defaultESD_SD_EEPNS0_10empty_typeENS0_5tupleIJPiSF_EEENSH_IJSI_SG_EEENS0_18inequality_wrapperIN6hipcub16HIPCUB_304000_NS8EqualityEEEPlJSF_EEE10hipError_tPvRmT3_T4_T5_T6_T7_T9_mT8_P12ihipStream_tbDpT10_ENKUlT_T0_E_clISt17integral_constantIbLb0EES1A_EEDaS15_S16_EUlS15_E_NS1_11comp_targetILNS1_3genE10ELNS1_11target_archE1200ELNS1_3gpuE4ELNS1_3repE0EEENS1_30default_config_static_selectorELNS0_4arch9wavefront6targetE1EEEvT1_.kd
    .uniform_work_group_size: 1
    .uses_dynamic_stack: false
    .vgpr_count:     0
    .vgpr_spill_count: 0
    .wavefront_size: 64
  - .agpr_count:     0
    .args:
      - .offset:         0
        .size:           112
        .value_kind:     by_value
    .group_segment_fixed_size: 0
    .kernarg_segment_align: 8
    .kernarg_segment_size: 112
    .language:       OpenCL C
    .language_version:
      - 2
      - 0
    .max_flat_workgroup_size: 384
    .name:           _ZN7rocprim17ROCPRIM_400000_NS6detail17trampoline_kernelINS0_14default_configENS1_25partition_config_selectorILNS1_17partition_subalgoE9EiibEEZZNS1_14partition_implILS5_9ELb0ES3_jPKiN6thrust23THRUST_200600_302600_NS17counting_iteratorIiNSB_11use_defaultESD_SD_EEPNS0_10empty_typeENS0_5tupleIJPiSF_EEENSH_IJSI_SG_EEENS0_18inequality_wrapperIN6hipcub16HIPCUB_304000_NS8EqualityEEEPlJSF_EEE10hipError_tPvRmT3_T4_T5_T6_T7_T9_mT8_P12ihipStream_tbDpT10_ENKUlT_T0_E_clISt17integral_constantIbLb0EES1A_EEDaS15_S16_EUlS15_E_NS1_11comp_targetILNS1_3genE9ELNS1_11target_archE1100ELNS1_3gpuE3ELNS1_3repE0EEENS1_30default_config_static_selectorELNS0_4arch9wavefront6targetE1EEEvT1_
    .private_segment_fixed_size: 0
    .sgpr_count:     4
    .sgpr_spill_count: 0
    .symbol:         _ZN7rocprim17ROCPRIM_400000_NS6detail17trampoline_kernelINS0_14default_configENS1_25partition_config_selectorILNS1_17partition_subalgoE9EiibEEZZNS1_14partition_implILS5_9ELb0ES3_jPKiN6thrust23THRUST_200600_302600_NS17counting_iteratorIiNSB_11use_defaultESD_SD_EEPNS0_10empty_typeENS0_5tupleIJPiSF_EEENSH_IJSI_SG_EEENS0_18inequality_wrapperIN6hipcub16HIPCUB_304000_NS8EqualityEEEPlJSF_EEE10hipError_tPvRmT3_T4_T5_T6_T7_T9_mT8_P12ihipStream_tbDpT10_ENKUlT_T0_E_clISt17integral_constantIbLb0EES1A_EEDaS15_S16_EUlS15_E_NS1_11comp_targetILNS1_3genE9ELNS1_11target_archE1100ELNS1_3gpuE3ELNS1_3repE0EEENS1_30default_config_static_selectorELNS0_4arch9wavefront6targetE1EEEvT1_.kd
    .uniform_work_group_size: 1
    .uses_dynamic_stack: false
    .vgpr_count:     0
    .vgpr_spill_count: 0
    .wavefront_size: 64
  - .agpr_count:     0
    .args:
      - .offset:         0
        .size:           112
        .value_kind:     by_value
    .group_segment_fixed_size: 0
    .kernarg_segment_align: 8
    .kernarg_segment_size: 112
    .language:       OpenCL C
    .language_version:
      - 2
      - 0
    .max_flat_workgroup_size: 512
    .name:           _ZN7rocprim17ROCPRIM_400000_NS6detail17trampoline_kernelINS0_14default_configENS1_25partition_config_selectorILNS1_17partition_subalgoE9EiibEEZZNS1_14partition_implILS5_9ELb0ES3_jPKiN6thrust23THRUST_200600_302600_NS17counting_iteratorIiNSB_11use_defaultESD_SD_EEPNS0_10empty_typeENS0_5tupleIJPiSF_EEENSH_IJSI_SG_EEENS0_18inequality_wrapperIN6hipcub16HIPCUB_304000_NS8EqualityEEEPlJSF_EEE10hipError_tPvRmT3_T4_T5_T6_T7_T9_mT8_P12ihipStream_tbDpT10_ENKUlT_T0_E_clISt17integral_constantIbLb0EES1A_EEDaS15_S16_EUlS15_E_NS1_11comp_targetILNS1_3genE8ELNS1_11target_archE1030ELNS1_3gpuE2ELNS1_3repE0EEENS1_30default_config_static_selectorELNS0_4arch9wavefront6targetE1EEEvT1_
    .private_segment_fixed_size: 0
    .sgpr_count:     4
    .sgpr_spill_count: 0
    .symbol:         _ZN7rocprim17ROCPRIM_400000_NS6detail17trampoline_kernelINS0_14default_configENS1_25partition_config_selectorILNS1_17partition_subalgoE9EiibEEZZNS1_14partition_implILS5_9ELb0ES3_jPKiN6thrust23THRUST_200600_302600_NS17counting_iteratorIiNSB_11use_defaultESD_SD_EEPNS0_10empty_typeENS0_5tupleIJPiSF_EEENSH_IJSI_SG_EEENS0_18inequality_wrapperIN6hipcub16HIPCUB_304000_NS8EqualityEEEPlJSF_EEE10hipError_tPvRmT3_T4_T5_T6_T7_T9_mT8_P12ihipStream_tbDpT10_ENKUlT_T0_E_clISt17integral_constantIbLb0EES1A_EEDaS15_S16_EUlS15_E_NS1_11comp_targetILNS1_3genE8ELNS1_11target_archE1030ELNS1_3gpuE2ELNS1_3repE0EEENS1_30default_config_static_selectorELNS0_4arch9wavefront6targetE1EEEvT1_.kd
    .uniform_work_group_size: 1
    .uses_dynamic_stack: false
    .vgpr_count:     0
    .vgpr_spill_count: 0
    .wavefront_size: 64
  - .agpr_count:     0
    .args:
      - .offset:         0
        .size:           40
        .value_kind:     by_value
    .group_segment_fixed_size: 0
    .kernarg_segment_align: 8
    .kernarg_segment_size: 40
    .language:       OpenCL C
    .language_version:
      - 2
      - 0
    .max_flat_workgroup_size: 128
    .name:           _ZN7rocprim17ROCPRIM_400000_NS6detail17trampoline_kernelINS0_14default_configENS1_25transform_config_selectorImLb1EEEZNS1_14transform_implILb1ES3_S5_PmPlNS0_8identityIvEEEE10hipError_tT2_T3_mT4_P12ihipStream_tbEUlT_E_NS1_11comp_targetILNS1_3genE0ELNS1_11target_archE4294967295ELNS1_3gpuE0ELNS1_3repE0EEENS1_30default_config_static_selectorELNS0_4arch9wavefront6targetE1EEEvT1_
    .private_segment_fixed_size: 0
    .sgpr_count:     4
    .sgpr_spill_count: 0
    .symbol:         _ZN7rocprim17ROCPRIM_400000_NS6detail17trampoline_kernelINS0_14default_configENS1_25transform_config_selectorImLb1EEEZNS1_14transform_implILb1ES3_S5_PmPlNS0_8identityIvEEEE10hipError_tT2_T3_mT4_P12ihipStream_tbEUlT_E_NS1_11comp_targetILNS1_3genE0ELNS1_11target_archE4294967295ELNS1_3gpuE0ELNS1_3repE0EEENS1_30default_config_static_selectorELNS0_4arch9wavefront6targetE1EEEvT1_.kd
    .uniform_work_group_size: 1
    .uses_dynamic_stack: false
    .vgpr_count:     0
    .vgpr_spill_count: 0
    .wavefront_size: 64
  - .agpr_count:     0
    .args:
      - .offset:         0
        .size:           40
        .value_kind:     by_value
    .group_segment_fixed_size: 0
    .kernarg_segment_align: 8
    .kernarg_segment_size: 40
    .language:       OpenCL C
    .language_version:
      - 2
      - 0
    .max_flat_workgroup_size: 1024
    .name:           _ZN7rocprim17ROCPRIM_400000_NS6detail17trampoline_kernelINS0_14default_configENS1_25transform_config_selectorImLb1EEEZNS1_14transform_implILb1ES3_S5_PmPlNS0_8identityIvEEEE10hipError_tT2_T3_mT4_P12ihipStream_tbEUlT_E_NS1_11comp_targetILNS1_3genE10ELNS1_11target_archE1201ELNS1_3gpuE5ELNS1_3repE0EEENS1_30default_config_static_selectorELNS0_4arch9wavefront6targetE1EEEvT1_
    .private_segment_fixed_size: 0
    .sgpr_count:     4
    .sgpr_spill_count: 0
    .symbol:         _ZN7rocprim17ROCPRIM_400000_NS6detail17trampoline_kernelINS0_14default_configENS1_25transform_config_selectorImLb1EEEZNS1_14transform_implILb1ES3_S5_PmPlNS0_8identityIvEEEE10hipError_tT2_T3_mT4_P12ihipStream_tbEUlT_E_NS1_11comp_targetILNS1_3genE10ELNS1_11target_archE1201ELNS1_3gpuE5ELNS1_3repE0EEENS1_30default_config_static_selectorELNS0_4arch9wavefront6targetE1EEEvT1_.kd
    .uniform_work_group_size: 1
    .uses_dynamic_stack: false
    .vgpr_count:     0
    .vgpr_spill_count: 0
    .wavefront_size: 64
  - .agpr_count:     0
    .args:
      - .offset:         0
        .size:           40
        .value_kind:     by_value
    .group_segment_fixed_size: 0
    .kernarg_segment_align: 8
    .kernarg_segment_size: 40
    .language:       OpenCL C
    .language_version:
      - 2
      - 0
    .max_flat_workgroup_size: 512
    .name:           _ZN7rocprim17ROCPRIM_400000_NS6detail17trampoline_kernelINS0_14default_configENS1_25transform_config_selectorImLb1EEEZNS1_14transform_implILb1ES3_S5_PmPlNS0_8identityIvEEEE10hipError_tT2_T3_mT4_P12ihipStream_tbEUlT_E_NS1_11comp_targetILNS1_3genE5ELNS1_11target_archE942ELNS1_3gpuE9ELNS1_3repE0EEENS1_30default_config_static_selectorELNS0_4arch9wavefront6targetE1EEEvT1_
    .private_segment_fixed_size: 0
    .sgpr_count:     4
    .sgpr_spill_count: 0
    .symbol:         _ZN7rocprim17ROCPRIM_400000_NS6detail17trampoline_kernelINS0_14default_configENS1_25transform_config_selectorImLb1EEEZNS1_14transform_implILb1ES3_S5_PmPlNS0_8identityIvEEEE10hipError_tT2_T3_mT4_P12ihipStream_tbEUlT_E_NS1_11comp_targetILNS1_3genE5ELNS1_11target_archE942ELNS1_3gpuE9ELNS1_3repE0EEENS1_30default_config_static_selectorELNS0_4arch9wavefront6targetE1EEEvT1_.kd
    .uniform_work_group_size: 1
    .uses_dynamic_stack: false
    .vgpr_count:     0
    .vgpr_spill_count: 0
    .wavefront_size: 64
  - .agpr_count:     0
    .args:
      - .offset:         0
        .size:           40
        .value_kind:     by_value
      - .offset:         40
        .size:           4
        .value_kind:     hidden_block_count_x
      - .offset:         44
        .size:           4
        .value_kind:     hidden_block_count_y
      - .offset:         48
        .size:           4
        .value_kind:     hidden_block_count_z
      - .offset:         52
        .size:           2
        .value_kind:     hidden_group_size_x
      - .offset:         54
        .size:           2
        .value_kind:     hidden_group_size_y
      - .offset:         56
        .size:           2
        .value_kind:     hidden_group_size_z
      - .offset:         58
        .size:           2
        .value_kind:     hidden_remainder_x
      - .offset:         60
        .size:           2
        .value_kind:     hidden_remainder_y
      - .offset:         62
        .size:           2
        .value_kind:     hidden_remainder_z
      - .offset:         80
        .size:           8
        .value_kind:     hidden_global_offset_x
      - .offset:         88
        .size:           8
        .value_kind:     hidden_global_offset_y
      - .offset:         96
        .size:           8
        .value_kind:     hidden_global_offset_z
      - .offset:         104
        .size:           2
        .value_kind:     hidden_grid_dims
    .group_segment_fixed_size: 0
    .kernarg_segment_align: 8
    .kernarg_segment_size: 296
    .language:       OpenCL C
    .language_version:
      - 2
      - 0
    .max_flat_workgroup_size: 1024
    .name:           _ZN7rocprim17ROCPRIM_400000_NS6detail17trampoline_kernelINS0_14default_configENS1_25transform_config_selectorImLb1EEEZNS1_14transform_implILb1ES3_S5_PmPlNS0_8identityIvEEEE10hipError_tT2_T3_mT4_P12ihipStream_tbEUlT_E_NS1_11comp_targetILNS1_3genE4ELNS1_11target_archE910ELNS1_3gpuE8ELNS1_3repE0EEENS1_30default_config_static_selectorELNS0_4arch9wavefront6targetE1EEEvT1_
    .private_segment_fixed_size: 0
    .sgpr_count:     20
    .sgpr_spill_count: 0
    .symbol:         _ZN7rocprim17ROCPRIM_400000_NS6detail17trampoline_kernelINS0_14default_configENS1_25transform_config_selectorImLb1EEEZNS1_14transform_implILb1ES3_S5_PmPlNS0_8identityIvEEEE10hipError_tT2_T3_mT4_P12ihipStream_tbEUlT_E_NS1_11comp_targetILNS1_3genE4ELNS1_11target_archE910ELNS1_3gpuE8ELNS1_3repE0EEENS1_30default_config_static_selectorELNS0_4arch9wavefront6targetE1EEEvT1_.kd
    .uniform_work_group_size: 1
    .uses_dynamic_stack: false
    .vgpr_count:     7
    .vgpr_spill_count: 0
    .wavefront_size: 64
  - .agpr_count:     0
    .args:
      - .offset:         0
        .size:           40
        .value_kind:     by_value
    .group_segment_fixed_size: 0
    .kernarg_segment_align: 8
    .kernarg_segment_size: 40
    .language:       OpenCL C
    .language_version:
      - 2
      - 0
    .max_flat_workgroup_size: 128
    .name:           _ZN7rocprim17ROCPRIM_400000_NS6detail17trampoline_kernelINS0_14default_configENS1_25transform_config_selectorImLb1EEEZNS1_14transform_implILb1ES3_S5_PmPlNS0_8identityIvEEEE10hipError_tT2_T3_mT4_P12ihipStream_tbEUlT_E_NS1_11comp_targetILNS1_3genE3ELNS1_11target_archE908ELNS1_3gpuE7ELNS1_3repE0EEENS1_30default_config_static_selectorELNS0_4arch9wavefront6targetE1EEEvT1_
    .private_segment_fixed_size: 0
    .sgpr_count:     4
    .sgpr_spill_count: 0
    .symbol:         _ZN7rocprim17ROCPRIM_400000_NS6detail17trampoline_kernelINS0_14default_configENS1_25transform_config_selectorImLb1EEEZNS1_14transform_implILb1ES3_S5_PmPlNS0_8identityIvEEEE10hipError_tT2_T3_mT4_P12ihipStream_tbEUlT_E_NS1_11comp_targetILNS1_3genE3ELNS1_11target_archE908ELNS1_3gpuE7ELNS1_3repE0EEENS1_30default_config_static_selectorELNS0_4arch9wavefront6targetE1EEEvT1_.kd
    .uniform_work_group_size: 1
    .uses_dynamic_stack: false
    .vgpr_count:     0
    .vgpr_spill_count: 0
    .wavefront_size: 64
  - .agpr_count:     0
    .args:
      - .offset:         0
        .size:           40
        .value_kind:     by_value
    .group_segment_fixed_size: 0
    .kernarg_segment_align: 8
    .kernarg_segment_size: 40
    .language:       OpenCL C
    .language_version:
      - 2
      - 0
    .max_flat_workgroup_size: 512
    .name:           _ZN7rocprim17ROCPRIM_400000_NS6detail17trampoline_kernelINS0_14default_configENS1_25transform_config_selectorImLb1EEEZNS1_14transform_implILb1ES3_S5_PmPlNS0_8identityIvEEEE10hipError_tT2_T3_mT4_P12ihipStream_tbEUlT_E_NS1_11comp_targetILNS1_3genE2ELNS1_11target_archE906ELNS1_3gpuE6ELNS1_3repE0EEENS1_30default_config_static_selectorELNS0_4arch9wavefront6targetE1EEEvT1_
    .private_segment_fixed_size: 0
    .sgpr_count:     4
    .sgpr_spill_count: 0
    .symbol:         _ZN7rocprim17ROCPRIM_400000_NS6detail17trampoline_kernelINS0_14default_configENS1_25transform_config_selectorImLb1EEEZNS1_14transform_implILb1ES3_S5_PmPlNS0_8identityIvEEEE10hipError_tT2_T3_mT4_P12ihipStream_tbEUlT_E_NS1_11comp_targetILNS1_3genE2ELNS1_11target_archE906ELNS1_3gpuE6ELNS1_3repE0EEENS1_30default_config_static_selectorELNS0_4arch9wavefront6targetE1EEEvT1_.kd
    .uniform_work_group_size: 1
    .uses_dynamic_stack: false
    .vgpr_count:     0
    .vgpr_spill_count: 0
    .wavefront_size: 64
  - .agpr_count:     0
    .args:
      - .offset:         0
        .size:           40
        .value_kind:     by_value
    .group_segment_fixed_size: 0
    .kernarg_segment_align: 8
    .kernarg_segment_size: 40
    .language:       OpenCL C
    .language_version:
      - 2
      - 0
    .max_flat_workgroup_size: 1024
    .name:           _ZN7rocprim17ROCPRIM_400000_NS6detail17trampoline_kernelINS0_14default_configENS1_25transform_config_selectorImLb1EEEZNS1_14transform_implILb1ES3_S5_PmPlNS0_8identityIvEEEE10hipError_tT2_T3_mT4_P12ihipStream_tbEUlT_E_NS1_11comp_targetILNS1_3genE9ELNS1_11target_archE1100ELNS1_3gpuE3ELNS1_3repE0EEENS1_30default_config_static_selectorELNS0_4arch9wavefront6targetE1EEEvT1_
    .private_segment_fixed_size: 0
    .sgpr_count:     4
    .sgpr_spill_count: 0
    .symbol:         _ZN7rocprim17ROCPRIM_400000_NS6detail17trampoline_kernelINS0_14default_configENS1_25transform_config_selectorImLb1EEEZNS1_14transform_implILb1ES3_S5_PmPlNS0_8identityIvEEEE10hipError_tT2_T3_mT4_P12ihipStream_tbEUlT_E_NS1_11comp_targetILNS1_3genE9ELNS1_11target_archE1100ELNS1_3gpuE3ELNS1_3repE0EEENS1_30default_config_static_selectorELNS0_4arch9wavefront6targetE1EEEvT1_.kd
    .uniform_work_group_size: 1
    .uses_dynamic_stack: false
    .vgpr_count:     0
    .vgpr_spill_count: 0
    .wavefront_size: 64
  - .agpr_count:     0
    .args:
      - .offset:         0
        .size:           40
        .value_kind:     by_value
    .group_segment_fixed_size: 0
    .kernarg_segment_align: 8
    .kernarg_segment_size: 40
    .language:       OpenCL C
    .language_version:
      - 2
      - 0
    .max_flat_workgroup_size: 1024
    .name:           _ZN7rocprim17ROCPRIM_400000_NS6detail17trampoline_kernelINS0_14default_configENS1_25transform_config_selectorImLb1EEEZNS1_14transform_implILb1ES3_S5_PmPlNS0_8identityIvEEEE10hipError_tT2_T3_mT4_P12ihipStream_tbEUlT_E_NS1_11comp_targetILNS1_3genE8ELNS1_11target_archE1030ELNS1_3gpuE2ELNS1_3repE0EEENS1_30default_config_static_selectorELNS0_4arch9wavefront6targetE1EEEvT1_
    .private_segment_fixed_size: 0
    .sgpr_count:     4
    .sgpr_spill_count: 0
    .symbol:         _ZN7rocprim17ROCPRIM_400000_NS6detail17trampoline_kernelINS0_14default_configENS1_25transform_config_selectorImLb1EEEZNS1_14transform_implILb1ES3_S5_PmPlNS0_8identityIvEEEE10hipError_tT2_T3_mT4_P12ihipStream_tbEUlT_E_NS1_11comp_targetILNS1_3genE8ELNS1_11target_archE1030ELNS1_3gpuE2ELNS1_3repE0EEENS1_30default_config_static_selectorELNS0_4arch9wavefront6targetE1EEEvT1_.kd
    .uniform_work_group_size: 1
    .uses_dynamic_stack: false
    .vgpr_count:     0
    .vgpr_spill_count: 0
    .wavefront_size: 64
  - .agpr_count:     0
    .args:
      - .address_space:  global
        .offset:         0
        .size:           8
        .value_kind:     global_buffer
      - .offset:         8
        .size:           4
        .value_kind:     by_value
      - .address_space:  global
        .offset:         16
        .size:           8
        .value_kind:     global_buffer
      - .offset:         24
        .size:           4
        .value_kind:     by_value
      - .address_space:  global
        .offset:         32
        .size:           8
        .value_kind:     global_buffer
      - .offset:         40
        .size:           4
        .value_kind:     hidden_block_count_x
      - .offset:         44
        .size:           4
        .value_kind:     hidden_block_count_y
      - .offset:         48
        .size:           4
        .value_kind:     hidden_block_count_z
      - .offset:         52
        .size:           2
        .value_kind:     hidden_group_size_x
      - .offset:         54
        .size:           2
        .value_kind:     hidden_group_size_y
      - .offset:         56
        .size:           2
        .value_kind:     hidden_group_size_z
      - .offset:         58
        .size:           2
        .value_kind:     hidden_remainder_x
      - .offset:         60
        .size:           2
        .value_kind:     hidden_remainder_y
      - .offset:         62
        .size:           2
        .value_kind:     hidden_remainder_z
      - .offset:         80
        .size:           8
        .value_kind:     hidden_global_offset_x
      - .offset:         88
        .size:           8
        .value_kind:     hidden_global_offset_y
      - .offset:         96
        .size:           8
        .value_kind:     hidden_global_offset_z
      - .offset:         104
        .size:           2
        .value_kind:     hidden_grid_dims
    .group_segment_fixed_size: 0
    .kernarg_segment_align: 8
    .kernarg_segment_size: 296
    .language:       OpenCL C
    .language_version:
      - 2
      - 0
    .max_flat_workgroup_size: 256
    .name:           _ZN7rocprim17ROCPRIM_400000_NS6detail31init_lookback_scan_state_kernelINS1_19lookback_scan_stateIjLb1ELb1EEENS1_16block_id_wrapperIjLb1EEEEEvT_jT0_jPNS7_10value_typeE
    .private_segment_fixed_size: 0
    .sgpr_count:     18
    .sgpr_spill_count: 0
    .symbol:         _ZN7rocprim17ROCPRIM_400000_NS6detail31init_lookback_scan_state_kernelINS1_19lookback_scan_stateIjLb1ELb1EEENS1_16block_id_wrapperIjLb1EEEEEvT_jT0_jPNS7_10value_typeE.kd
    .uniform_work_group_size: 1
    .uses_dynamic_stack: false
    .vgpr_count:     6
    .vgpr_spill_count: 0
    .wavefront_size: 64
  - .agpr_count:     0
    .args:
      - .offset:         0
        .size:           128
        .value_kind:     by_value
    .group_segment_fixed_size: 0
    .kernarg_segment_align: 8
    .kernarg_segment_size: 128
    .language:       OpenCL C
    .language_version:
      - 2
      - 0
    .max_flat_workgroup_size: 256
    .name:           _ZN7rocprim17ROCPRIM_400000_NS6detail17trampoline_kernelINS0_14default_configENS1_25partition_config_selectorILNS1_17partition_subalgoE9EiibEEZZNS1_14partition_implILS5_9ELb0ES3_jPKiN6thrust23THRUST_200600_302600_NS17counting_iteratorIiNSB_11use_defaultESD_SD_EEPNS0_10empty_typeENS0_5tupleIJPiSF_EEENSH_IJSI_SG_EEENS0_18inequality_wrapperIN6hipcub16HIPCUB_304000_NS8EqualityEEEPlJSF_EEE10hipError_tPvRmT3_T4_T5_T6_T7_T9_mT8_P12ihipStream_tbDpT10_ENKUlT_T0_E_clISt17integral_constantIbLb1EES1A_EEDaS15_S16_EUlS15_E_NS1_11comp_targetILNS1_3genE0ELNS1_11target_archE4294967295ELNS1_3gpuE0ELNS1_3repE0EEENS1_30default_config_static_selectorELNS0_4arch9wavefront6targetE1EEEvT1_
    .private_segment_fixed_size: 0
    .sgpr_count:     4
    .sgpr_spill_count: 0
    .symbol:         _ZN7rocprim17ROCPRIM_400000_NS6detail17trampoline_kernelINS0_14default_configENS1_25partition_config_selectorILNS1_17partition_subalgoE9EiibEEZZNS1_14partition_implILS5_9ELb0ES3_jPKiN6thrust23THRUST_200600_302600_NS17counting_iteratorIiNSB_11use_defaultESD_SD_EEPNS0_10empty_typeENS0_5tupleIJPiSF_EEENSH_IJSI_SG_EEENS0_18inequality_wrapperIN6hipcub16HIPCUB_304000_NS8EqualityEEEPlJSF_EEE10hipError_tPvRmT3_T4_T5_T6_T7_T9_mT8_P12ihipStream_tbDpT10_ENKUlT_T0_E_clISt17integral_constantIbLb1EES1A_EEDaS15_S16_EUlS15_E_NS1_11comp_targetILNS1_3genE0ELNS1_11target_archE4294967295ELNS1_3gpuE0ELNS1_3repE0EEENS1_30default_config_static_selectorELNS0_4arch9wavefront6targetE1EEEvT1_.kd
    .uniform_work_group_size: 1
    .uses_dynamic_stack: false
    .vgpr_count:     0
    .vgpr_spill_count: 0
    .wavefront_size: 64
  - .agpr_count:     0
    .args:
      - .offset:         0
        .size:           128
        .value_kind:     by_value
    .group_segment_fixed_size: 0
    .kernarg_segment_align: 8
    .kernarg_segment_size: 128
    .language:       OpenCL C
    .language_version:
      - 2
      - 0
    .max_flat_workgroup_size: 512
    .name:           _ZN7rocprim17ROCPRIM_400000_NS6detail17trampoline_kernelINS0_14default_configENS1_25partition_config_selectorILNS1_17partition_subalgoE9EiibEEZZNS1_14partition_implILS5_9ELb0ES3_jPKiN6thrust23THRUST_200600_302600_NS17counting_iteratorIiNSB_11use_defaultESD_SD_EEPNS0_10empty_typeENS0_5tupleIJPiSF_EEENSH_IJSI_SG_EEENS0_18inequality_wrapperIN6hipcub16HIPCUB_304000_NS8EqualityEEEPlJSF_EEE10hipError_tPvRmT3_T4_T5_T6_T7_T9_mT8_P12ihipStream_tbDpT10_ENKUlT_T0_E_clISt17integral_constantIbLb1EES1A_EEDaS15_S16_EUlS15_E_NS1_11comp_targetILNS1_3genE5ELNS1_11target_archE942ELNS1_3gpuE9ELNS1_3repE0EEENS1_30default_config_static_selectorELNS0_4arch9wavefront6targetE1EEEvT1_
    .private_segment_fixed_size: 0
    .sgpr_count:     4
    .sgpr_spill_count: 0
    .symbol:         _ZN7rocprim17ROCPRIM_400000_NS6detail17trampoline_kernelINS0_14default_configENS1_25partition_config_selectorILNS1_17partition_subalgoE9EiibEEZZNS1_14partition_implILS5_9ELb0ES3_jPKiN6thrust23THRUST_200600_302600_NS17counting_iteratorIiNSB_11use_defaultESD_SD_EEPNS0_10empty_typeENS0_5tupleIJPiSF_EEENSH_IJSI_SG_EEENS0_18inequality_wrapperIN6hipcub16HIPCUB_304000_NS8EqualityEEEPlJSF_EEE10hipError_tPvRmT3_T4_T5_T6_T7_T9_mT8_P12ihipStream_tbDpT10_ENKUlT_T0_E_clISt17integral_constantIbLb1EES1A_EEDaS15_S16_EUlS15_E_NS1_11comp_targetILNS1_3genE5ELNS1_11target_archE942ELNS1_3gpuE9ELNS1_3repE0EEENS1_30default_config_static_selectorELNS0_4arch9wavefront6targetE1EEEvT1_.kd
    .uniform_work_group_size: 1
    .uses_dynamic_stack: false
    .vgpr_count:     0
    .vgpr_spill_count: 0
    .wavefront_size: 64
  - .agpr_count:     0
    .args:
      - .offset:         0
        .size:           128
        .value_kind:     by_value
    .group_segment_fixed_size: 5384
    .kernarg_segment_align: 8
    .kernarg_segment_size: 128
    .language:       OpenCL C
    .language_version:
      - 2
      - 0
    .max_flat_workgroup_size: 192
    .name:           _ZN7rocprim17ROCPRIM_400000_NS6detail17trampoline_kernelINS0_14default_configENS1_25partition_config_selectorILNS1_17partition_subalgoE9EiibEEZZNS1_14partition_implILS5_9ELb0ES3_jPKiN6thrust23THRUST_200600_302600_NS17counting_iteratorIiNSB_11use_defaultESD_SD_EEPNS0_10empty_typeENS0_5tupleIJPiSF_EEENSH_IJSI_SG_EEENS0_18inequality_wrapperIN6hipcub16HIPCUB_304000_NS8EqualityEEEPlJSF_EEE10hipError_tPvRmT3_T4_T5_T6_T7_T9_mT8_P12ihipStream_tbDpT10_ENKUlT_T0_E_clISt17integral_constantIbLb1EES1A_EEDaS15_S16_EUlS15_E_NS1_11comp_targetILNS1_3genE4ELNS1_11target_archE910ELNS1_3gpuE8ELNS1_3repE0EEENS1_30default_config_static_selectorELNS0_4arch9wavefront6targetE1EEEvT1_
    .private_segment_fixed_size: 0
    .sgpr_count:     48
    .sgpr_spill_count: 0
    .symbol:         _ZN7rocprim17ROCPRIM_400000_NS6detail17trampoline_kernelINS0_14default_configENS1_25partition_config_selectorILNS1_17partition_subalgoE9EiibEEZZNS1_14partition_implILS5_9ELb0ES3_jPKiN6thrust23THRUST_200600_302600_NS17counting_iteratorIiNSB_11use_defaultESD_SD_EEPNS0_10empty_typeENS0_5tupleIJPiSF_EEENSH_IJSI_SG_EEENS0_18inequality_wrapperIN6hipcub16HIPCUB_304000_NS8EqualityEEEPlJSF_EEE10hipError_tPvRmT3_T4_T5_T6_T7_T9_mT8_P12ihipStream_tbDpT10_ENKUlT_T0_E_clISt17integral_constantIbLb1EES1A_EEDaS15_S16_EUlS15_E_NS1_11comp_targetILNS1_3genE4ELNS1_11target_archE910ELNS1_3gpuE8ELNS1_3repE0EEENS1_30default_config_static_selectorELNS0_4arch9wavefront6targetE1EEEvT1_.kd
    .uniform_work_group_size: 1
    .uses_dynamic_stack: false
    .vgpr_count:     52
    .vgpr_spill_count: 0
    .wavefront_size: 64
  - .agpr_count:     0
    .args:
      - .offset:         0
        .size:           128
        .value_kind:     by_value
    .group_segment_fixed_size: 0
    .kernarg_segment_align: 8
    .kernarg_segment_size: 128
    .language:       OpenCL C
    .language_version:
      - 2
      - 0
    .max_flat_workgroup_size: 256
    .name:           _ZN7rocprim17ROCPRIM_400000_NS6detail17trampoline_kernelINS0_14default_configENS1_25partition_config_selectorILNS1_17partition_subalgoE9EiibEEZZNS1_14partition_implILS5_9ELb0ES3_jPKiN6thrust23THRUST_200600_302600_NS17counting_iteratorIiNSB_11use_defaultESD_SD_EEPNS0_10empty_typeENS0_5tupleIJPiSF_EEENSH_IJSI_SG_EEENS0_18inequality_wrapperIN6hipcub16HIPCUB_304000_NS8EqualityEEEPlJSF_EEE10hipError_tPvRmT3_T4_T5_T6_T7_T9_mT8_P12ihipStream_tbDpT10_ENKUlT_T0_E_clISt17integral_constantIbLb1EES1A_EEDaS15_S16_EUlS15_E_NS1_11comp_targetILNS1_3genE3ELNS1_11target_archE908ELNS1_3gpuE7ELNS1_3repE0EEENS1_30default_config_static_selectorELNS0_4arch9wavefront6targetE1EEEvT1_
    .private_segment_fixed_size: 0
    .sgpr_count:     4
    .sgpr_spill_count: 0
    .symbol:         _ZN7rocprim17ROCPRIM_400000_NS6detail17trampoline_kernelINS0_14default_configENS1_25partition_config_selectorILNS1_17partition_subalgoE9EiibEEZZNS1_14partition_implILS5_9ELb0ES3_jPKiN6thrust23THRUST_200600_302600_NS17counting_iteratorIiNSB_11use_defaultESD_SD_EEPNS0_10empty_typeENS0_5tupleIJPiSF_EEENSH_IJSI_SG_EEENS0_18inequality_wrapperIN6hipcub16HIPCUB_304000_NS8EqualityEEEPlJSF_EEE10hipError_tPvRmT3_T4_T5_T6_T7_T9_mT8_P12ihipStream_tbDpT10_ENKUlT_T0_E_clISt17integral_constantIbLb1EES1A_EEDaS15_S16_EUlS15_E_NS1_11comp_targetILNS1_3genE3ELNS1_11target_archE908ELNS1_3gpuE7ELNS1_3repE0EEENS1_30default_config_static_selectorELNS0_4arch9wavefront6targetE1EEEvT1_.kd
    .uniform_work_group_size: 1
    .uses_dynamic_stack: false
    .vgpr_count:     0
    .vgpr_spill_count: 0
    .wavefront_size: 64
  - .agpr_count:     0
    .args:
      - .offset:         0
        .size:           128
        .value_kind:     by_value
    .group_segment_fixed_size: 0
    .kernarg_segment_align: 8
    .kernarg_segment_size: 128
    .language:       OpenCL C
    .language_version:
      - 2
      - 0
    .max_flat_workgroup_size: 256
    .name:           _ZN7rocprim17ROCPRIM_400000_NS6detail17trampoline_kernelINS0_14default_configENS1_25partition_config_selectorILNS1_17partition_subalgoE9EiibEEZZNS1_14partition_implILS5_9ELb0ES3_jPKiN6thrust23THRUST_200600_302600_NS17counting_iteratorIiNSB_11use_defaultESD_SD_EEPNS0_10empty_typeENS0_5tupleIJPiSF_EEENSH_IJSI_SG_EEENS0_18inequality_wrapperIN6hipcub16HIPCUB_304000_NS8EqualityEEEPlJSF_EEE10hipError_tPvRmT3_T4_T5_T6_T7_T9_mT8_P12ihipStream_tbDpT10_ENKUlT_T0_E_clISt17integral_constantIbLb1EES1A_EEDaS15_S16_EUlS15_E_NS1_11comp_targetILNS1_3genE2ELNS1_11target_archE906ELNS1_3gpuE6ELNS1_3repE0EEENS1_30default_config_static_selectorELNS0_4arch9wavefront6targetE1EEEvT1_
    .private_segment_fixed_size: 0
    .sgpr_count:     4
    .sgpr_spill_count: 0
    .symbol:         _ZN7rocprim17ROCPRIM_400000_NS6detail17trampoline_kernelINS0_14default_configENS1_25partition_config_selectorILNS1_17partition_subalgoE9EiibEEZZNS1_14partition_implILS5_9ELb0ES3_jPKiN6thrust23THRUST_200600_302600_NS17counting_iteratorIiNSB_11use_defaultESD_SD_EEPNS0_10empty_typeENS0_5tupleIJPiSF_EEENSH_IJSI_SG_EEENS0_18inequality_wrapperIN6hipcub16HIPCUB_304000_NS8EqualityEEEPlJSF_EEE10hipError_tPvRmT3_T4_T5_T6_T7_T9_mT8_P12ihipStream_tbDpT10_ENKUlT_T0_E_clISt17integral_constantIbLb1EES1A_EEDaS15_S16_EUlS15_E_NS1_11comp_targetILNS1_3genE2ELNS1_11target_archE906ELNS1_3gpuE6ELNS1_3repE0EEENS1_30default_config_static_selectorELNS0_4arch9wavefront6targetE1EEEvT1_.kd
    .uniform_work_group_size: 1
    .uses_dynamic_stack: false
    .vgpr_count:     0
    .vgpr_spill_count: 0
    .wavefront_size: 64
  - .agpr_count:     0
    .args:
      - .offset:         0
        .size:           128
        .value_kind:     by_value
    .group_segment_fixed_size: 0
    .kernarg_segment_align: 8
    .kernarg_segment_size: 128
    .language:       OpenCL C
    .language_version:
      - 2
      - 0
    .max_flat_workgroup_size: 384
    .name:           _ZN7rocprim17ROCPRIM_400000_NS6detail17trampoline_kernelINS0_14default_configENS1_25partition_config_selectorILNS1_17partition_subalgoE9EiibEEZZNS1_14partition_implILS5_9ELb0ES3_jPKiN6thrust23THRUST_200600_302600_NS17counting_iteratorIiNSB_11use_defaultESD_SD_EEPNS0_10empty_typeENS0_5tupleIJPiSF_EEENSH_IJSI_SG_EEENS0_18inequality_wrapperIN6hipcub16HIPCUB_304000_NS8EqualityEEEPlJSF_EEE10hipError_tPvRmT3_T4_T5_T6_T7_T9_mT8_P12ihipStream_tbDpT10_ENKUlT_T0_E_clISt17integral_constantIbLb1EES1A_EEDaS15_S16_EUlS15_E_NS1_11comp_targetILNS1_3genE10ELNS1_11target_archE1200ELNS1_3gpuE4ELNS1_3repE0EEENS1_30default_config_static_selectorELNS0_4arch9wavefront6targetE1EEEvT1_
    .private_segment_fixed_size: 0
    .sgpr_count:     4
    .sgpr_spill_count: 0
    .symbol:         _ZN7rocprim17ROCPRIM_400000_NS6detail17trampoline_kernelINS0_14default_configENS1_25partition_config_selectorILNS1_17partition_subalgoE9EiibEEZZNS1_14partition_implILS5_9ELb0ES3_jPKiN6thrust23THRUST_200600_302600_NS17counting_iteratorIiNSB_11use_defaultESD_SD_EEPNS0_10empty_typeENS0_5tupleIJPiSF_EEENSH_IJSI_SG_EEENS0_18inequality_wrapperIN6hipcub16HIPCUB_304000_NS8EqualityEEEPlJSF_EEE10hipError_tPvRmT3_T4_T5_T6_T7_T9_mT8_P12ihipStream_tbDpT10_ENKUlT_T0_E_clISt17integral_constantIbLb1EES1A_EEDaS15_S16_EUlS15_E_NS1_11comp_targetILNS1_3genE10ELNS1_11target_archE1200ELNS1_3gpuE4ELNS1_3repE0EEENS1_30default_config_static_selectorELNS0_4arch9wavefront6targetE1EEEvT1_.kd
    .uniform_work_group_size: 1
    .uses_dynamic_stack: false
    .vgpr_count:     0
    .vgpr_spill_count: 0
    .wavefront_size: 64
  - .agpr_count:     0
    .args:
      - .offset:         0
        .size:           128
        .value_kind:     by_value
    .group_segment_fixed_size: 0
    .kernarg_segment_align: 8
    .kernarg_segment_size: 128
    .language:       OpenCL C
    .language_version:
      - 2
      - 0
    .max_flat_workgroup_size: 384
    .name:           _ZN7rocprim17ROCPRIM_400000_NS6detail17trampoline_kernelINS0_14default_configENS1_25partition_config_selectorILNS1_17partition_subalgoE9EiibEEZZNS1_14partition_implILS5_9ELb0ES3_jPKiN6thrust23THRUST_200600_302600_NS17counting_iteratorIiNSB_11use_defaultESD_SD_EEPNS0_10empty_typeENS0_5tupleIJPiSF_EEENSH_IJSI_SG_EEENS0_18inequality_wrapperIN6hipcub16HIPCUB_304000_NS8EqualityEEEPlJSF_EEE10hipError_tPvRmT3_T4_T5_T6_T7_T9_mT8_P12ihipStream_tbDpT10_ENKUlT_T0_E_clISt17integral_constantIbLb1EES1A_EEDaS15_S16_EUlS15_E_NS1_11comp_targetILNS1_3genE9ELNS1_11target_archE1100ELNS1_3gpuE3ELNS1_3repE0EEENS1_30default_config_static_selectorELNS0_4arch9wavefront6targetE1EEEvT1_
    .private_segment_fixed_size: 0
    .sgpr_count:     4
    .sgpr_spill_count: 0
    .symbol:         _ZN7rocprim17ROCPRIM_400000_NS6detail17trampoline_kernelINS0_14default_configENS1_25partition_config_selectorILNS1_17partition_subalgoE9EiibEEZZNS1_14partition_implILS5_9ELb0ES3_jPKiN6thrust23THRUST_200600_302600_NS17counting_iteratorIiNSB_11use_defaultESD_SD_EEPNS0_10empty_typeENS0_5tupleIJPiSF_EEENSH_IJSI_SG_EEENS0_18inequality_wrapperIN6hipcub16HIPCUB_304000_NS8EqualityEEEPlJSF_EEE10hipError_tPvRmT3_T4_T5_T6_T7_T9_mT8_P12ihipStream_tbDpT10_ENKUlT_T0_E_clISt17integral_constantIbLb1EES1A_EEDaS15_S16_EUlS15_E_NS1_11comp_targetILNS1_3genE9ELNS1_11target_archE1100ELNS1_3gpuE3ELNS1_3repE0EEENS1_30default_config_static_selectorELNS0_4arch9wavefront6targetE1EEEvT1_.kd
    .uniform_work_group_size: 1
    .uses_dynamic_stack: false
    .vgpr_count:     0
    .vgpr_spill_count: 0
    .wavefront_size: 64
  - .agpr_count:     0
    .args:
      - .offset:         0
        .size:           128
        .value_kind:     by_value
    .group_segment_fixed_size: 0
    .kernarg_segment_align: 8
    .kernarg_segment_size: 128
    .language:       OpenCL C
    .language_version:
      - 2
      - 0
    .max_flat_workgroup_size: 512
    .name:           _ZN7rocprim17ROCPRIM_400000_NS6detail17trampoline_kernelINS0_14default_configENS1_25partition_config_selectorILNS1_17partition_subalgoE9EiibEEZZNS1_14partition_implILS5_9ELb0ES3_jPKiN6thrust23THRUST_200600_302600_NS17counting_iteratorIiNSB_11use_defaultESD_SD_EEPNS0_10empty_typeENS0_5tupleIJPiSF_EEENSH_IJSI_SG_EEENS0_18inequality_wrapperIN6hipcub16HIPCUB_304000_NS8EqualityEEEPlJSF_EEE10hipError_tPvRmT3_T4_T5_T6_T7_T9_mT8_P12ihipStream_tbDpT10_ENKUlT_T0_E_clISt17integral_constantIbLb1EES1A_EEDaS15_S16_EUlS15_E_NS1_11comp_targetILNS1_3genE8ELNS1_11target_archE1030ELNS1_3gpuE2ELNS1_3repE0EEENS1_30default_config_static_selectorELNS0_4arch9wavefront6targetE1EEEvT1_
    .private_segment_fixed_size: 0
    .sgpr_count:     4
    .sgpr_spill_count: 0
    .symbol:         _ZN7rocprim17ROCPRIM_400000_NS6detail17trampoline_kernelINS0_14default_configENS1_25partition_config_selectorILNS1_17partition_subalgoE9EiibEEZZNS1_14partition_implILS5_9ELb0ES3_jPKiN6thrust23THRUST_200600_302600_NS17counting_iteratorIiNSB_11use_defaultESD_SD_EEPNS0_10empty_typeENS0_5tupleIJPiSF_EEENSH_IJSI_SG_EEENS0_18inequality_wrapperIN6hipcub16HIPCUB_304000_NS8EqualityEEEPlJSF_EEE10hipError_tPvRmT3_T4_T5_T6_T7_T9_mT8_P12ihipStream_tbDpT10_ENKUlT_T0_E_clISt17integral_constantIbLb1EES1A_EEDaS15_S16_EUlS15_E_NS1_11comp_targetILNS1_3genE8ELNS1_11target_archE1030ELNS1_3gpuE2ELNS1_3repE0EEENS1_30default_config_static_selectorELNS0_4arch9wavefront6targetE1EEEvT1_.kd
    .uniform_work_group_size: 1
    .uses_dynamic_stack: false
    .vgpr_count:     0
    .vgpr_spill_count: 0
    .wavefront_size: 64
  - .agpr_count:     0
    .args:
      - .address_space:  global
        .offset:         0
        .size:           8
        .value_kind:     global_buffer
      - .offset:         8
        .size:           4
        .value_kind:     by_value
      - .offset:         12
        .size:           1
        .value_kind:     by_value
      - .offset:         16
        .size:           4
        .value_kind:     by_value
      - .address_space:  global
        .offset:         24
        .size:           8
        .value_kind:     global_buffer
      - .offset:         32
        .size:           4
        .value_kind:     hidden_block_count_x
      - .offset:         36
        .size:           4
        .value_kind:     hidden_block_count_y
      - .offset:         40
        .size:           4
        .value_kind:     hidden_block_count_z
      - .offset:         44
        .size:           2
        .value_kind:     hidden_group_size_x
      - .offset:         46
        .size:           2
        .value_kind:     hidden_group_size_y
      - .offset:         48
        .size:           2
        .value_kind:     hidden_group_size_z
      - .offset:         50
        .size:           2
        .value_kind:     hidden_remainder_x
      - .offset:         52
        .size:           2
        .value_kind:     hidden_remainder_y
      - .offset:         54
        .size:           2
        .value_kind:     hidden_remainder_z
      - .offset:         72
        .size:           8
        .value_kind:     hidden_global_offset_x
      - .offset:         80
        .size:           8
        .value_kind:     hidden_global_offset_y
      - .offset:         88
        .size:           8
        .value_kind:     hidden_global_offset_z
      - .offset:         96
        .size:           2
        .value_kind:     hidden_grid_dims
    .group_segment_fixed_size: 0
    .kernarg_segment_align: 8
    .kernarg_segment_size: 288
    .language:       OpenCL C
    .language_version:
      - 2
      - 0
    .max_flat_workgroup_size: 256
    .name:           _ZN7rocprim17ROCPRIM_400000_NS6detail31init_lookback_scan_state_kernelINS1_19lookback_scan_stateIjLb1ELb1EEENS1_16block_id_wrapperIjLb0EEEEEvT_jT0_jPNS7_10value_typeE
    .private_segment_fixed_size: 0
    .sgpr_count:     16
    .sgpr_spill_count: 0
    .symbol:         _ZN7rocprim17ROCPRIM_400000_NS6detail31init_lookback_scan_state_kernelINS1_19lookback_scan_stateIjLb1ELb1EEENS1_16block_id_wrapperIjLb0EEEEEvT_jT0_jPNS7_10value_typeE.kd
    .uniform_work_group_size: 1
    .uses_dynamic_stack: false
    .vgpr_count:     6
    .vgpr_spill_count: 0
    .wavefront_size: 64
  - .agpr_count:     0
    .args:
      - .offset:         0
        .size:           112
        .value_kind:     by_value
    .group_segment_fixed_size: 0
    .kernarg_segment_align: 8
    .kernarg_segment_size: 112
    .language:       OpenCL C
    .language_version:
      - 2
      - 0
    .max_flat_workgroup_size: 256
    .name:           _ZN7rocprim17ROCPRIM_400000_NS6detail17trampoline_kernelINS0_14default_configENS1_25partition_config_selectorILNS1_17partition_subalgoE9EiibEEZZNS1_14partition_implILS5_9ELb0ES3_jPKiN6thrust23THRUST_200600_302600_NS17counting_iteratorIiNSB_11use_defaultESD_SD_EEPNS0_10empty_typeENS0_5tupleIJPiSF_EEENSH_IJSI_SG_EEENS0_18inequality_wrapperIN6hipcub16HIPCUB_304000_NS8EqualityEEEPlJSF_EEE10hipError_tPvRmT3_T4_T5_T6_T7_T9_mT8_P12ihipStream_tbDpT10_ENKUlT_T0_E_clISt17integral_constantIbLb1EES19_IbLb0EEEEDaS15_S16_EUlS15_E_NS1_11comp_targetILNS1_3genE0ELNS1_11target_archE4294967295ELNS1_3gpuE0ELNS1_3repE0EEENS1_30default_config_static_selectorELNS0_4arch9wavefront6targetE1EEEvT1_
    .private_segment_fixed_size: 0
    .sgpr_count:     4
    .sgpr_spill_count: 0
    .symbol:         _ZN7rocprim17ROCPRIM_400000_NS6detail17trampoline_kernelINS0_14default_configENS1_25partition_config_selectorILNS1_17partition_subalgoE9EiibEEZZNS1_14partition_implILS5_9ELb0ES3_jPKiN6thrust23THRUST_200600_302600_NS17counting_iteratorIiNSB_11use_defaultESD_SD_EEPNS0_10empty_typeENS0_5tupleIJPiSF_EEENSH_IJSI_SG_EEENS0_18inequality_wrapperIN6hipcub16HIPCUB_304000_NS8EqualityEEEPlJSF_EEE10hipError_tPvRmT3_T4_T5_T6_T7_T9_mT8_P12ihipStream_tbDpT10_ENKUlT_T0_E_clISt17integral_constantIbLb1EES19_IbLb0EEEEDaS15_S16_EUlS15_E_NS1_11comp_targetILNS1_3genE0ELNS1_11target_archE4294967295ELNS1_3gpuE0ELNS1_3repE0EEENS1_30default_config_static_selectorELNS0_4arch9wavefront6targetE1EEEvT1_.kd
    .uniform_work_group_size: 1
    .uses_dynamic_stack: false
    .vgpr_count:     0
    .vgpr_spill_count: 0
    .wavefront_size: 64
  - .agpr_count:     0
    .args:
      - .offset:         0
        .size:           112
        .value_kind:     by_value
    .group_segment_fixed_size: 0
    .kernarg_segment_align: 8
    .kernarg_segment_size: 112
    .language:       OpenCL C
    .language_version:
      - 2
      - 0
    .max_flat_workgroup_size: 512
    .name:           _ZN7rocprim17ROCPRIM_400000_NS6detail17trampoline_kernelINS0_14default_configENS1_25partition_config_selectorILNS1_17partition_subalgoE9EiibEEZZNS1_14partition_implILS5_9ELb0ES3_jPKiN6thrust23THRUST_200600_302600_NS17counting_iteratorIiNSB_11use_defaultESD_SD_EEPNS0_10empty_typeENS0_5tupleIJPiSF_EEENSH_IJSI_SG_EEENS0_18inequality_wrapperIN6hipcub16HIPCUB_304000_NS8EqualityEEEPlJSF_EEE10hipError_tPvRmT3_T4_T5_T6_T7_T9_mT8_P12ihipStream_tbDpT10_ENKUlT_T0_E_clISt17integral_constantIbLb1EES19_IbLb0EEEEDaS15_S16_EUlS15_E_NS1_11comp_targetILNS1_3genE5ELNS1_11target_archE942ELNS1_3gpuE9ELNS1_3repE0EEENS1_30default_config_static_selectorELNS0_4arch9wavefront6targetE1EEEvT1_
    .private_segment_fixed_size: 0
    .sgpr_count:     4
    .sgpr_spill_count: 0
    .symbol:         _ZN7rocprim17ROCPRIM_400000_NS6detail17trampoline_kernelINS0_14default_configENS1_25partition_config_selectorILNS1_17partition_subalgoE9EiibEEZZNS1_14partition_implILS5_9ELb0ES3_jPKiN6thrust23THRUST_200600_302600_NS17counting_iteratorIiNSB_11use_defaultESD_SD_EEPNS0_10empty_typeENS0_5tupleIJPiSF_EEENSH_IJSI_SG_EEENS0_18inequality_wrapperIN6hipcub16HIPCUB_304000_NS8EqualityEEEPlJSF_EEE10hipError_tPvRmT3_T4_T5_T6_T7_T9_mT8_P12ihipStream_tbDpT10_ENKUlT_T0_E_clISt17integral_constantIbLb1EES19_IbLb0EEEEDaS15_S16_EUlS15_E_NS1_11comp_targetILNS1_3genE5ELNS1_11target_archE942ELNS1_3gpuE9ELNS1_3repE0EEENS1_30default_config_static_selectorELNS0_4arch9wavefront6targetE1EEEvT1_.kd
    .uniform_work_group_size: 1
    .uses_dynamic_stack: false
    .vgpr_count:     0
    .vgpr_spill_count: 0
    .wavefront_size: 64
  - .agpr_count:     0
    .args:
      - .offset:         0
        .size:           112
        .value_kind:     by_value
    .group_segment_fixed_size: 5384
    .kernarg_segment_align: 8
    .kernarg_segment_size: 112
    .language:       OpenCL C
    .language_version:
      - 2
      - 0
    .max_flat_workgroup_size: 192
    .name:           _ZN7rocprim17ROCPRIM_400000_NS6detail17trampoline_kernelINS0_14default_configENS1_25partition_config_selectorILNS1_17partition_subalgoE9EiibEEZZNS1_14partition_implILS5_9ELb0ES3_jPKiN6thrust23THRUST_200600_302600_NS17counting_iteratorIiNSB_11use_defaultESD_SD_EEPNS0_10empty_typeENS0_5tupleIJPiSF_EEENSH_IJSI_SG_EEENS0_18inequality_wrapperIN6hipcub16HIPCUB_304000_NS8EqualityEEEPlJSF_EEE10hipError_tPvRmT3_T4_T5_T6_T7_T9_mT8_P12ihipStream_tbDpT10_ENKUlT_T0_E_clISt17integral_constantIbLb1EES19_IbLb0EEEEDaS15_S16_EUlS15_E_NS1_11comp_targetILNS1_3genE4ELNS1_11target_archE910ELNS1_3gpuE8ELNS1_3repE0EEENS1_30default_config_static_selectorELNS0_4arch9wavefront6targetE1EEEvT1_
    .private_segment_fixed_size: 0
    .sgpr_count:     44
    .sgpr_spill_count: 0
    .symbol:         _ZN7rocprim17ROCPRIM_400000_NS6detail17trampoline_kernelINS0_14default_configENS1_25partition_config_selectorILNS1_17partition_subalgoE9EiibEEZZNS1_14partition_implILS5_9ELb0ES3_jPKiN6thrust23THRUST_200600_302600_NS17counting_iteratorIiNSB_11use_defaultESD_SD_EEPNS0_10empty_typeENS0_5tupleIJPiSF_EEENSH_IJSI_SG_EEENS0_18inequality_wrapperIN6hipcub16HIPCUB_304000_NS8EqualityEEEPlJSF_EEE10hipError_tPvRmT3_T4_T5_T6_T7_T9_mT8_P12ihipStream_tbDpT10_ENKUlT_T0_E_clISt17integral_constantIbLb1EES19_IbLb0EEEEDaS15_S16_EUlS15_E_NS1_11comp_targetILNS1_3genE4ELNS1_11target_archE910ELNS1_3gpuE8ELNS1_3repE0EEENS1_30default_config_static_selectorELNS0_4arch9wavefront6targetE1EEEvT1_.kd
    .uniform_work_group_size: 1
    .uses_dynamic_stack: false
    .vgpr_count:     52
    .vgpr_spill_count: 0
    .wavefront_size: 64
  - .agpr_count:     0
    .args:
      - .offset:         0
        .size:           112
        .value_kind:     by_value
    .group_segment_fixed_size: 0
    .kernarg_segment_align: 8
    .kernarg_segment_size: 112
    .language:       OpenCL C
    .language_version:
      - 2
      - 0
    .max_flat_workgroup_size: 256
    .name:           _ZN7rocprim17ROCPRIM_400000_NS6detail17trampoline_kernelINS0_14default_configENS1_25partition_config_selectorILNS1_17partition_subalgoE9EiibEEZZNS1_14partition_implILS5_9ELb0ES3_jPKiN6thrust23THRUST_200600_302600_NS17counting_iteratorIiNSB_11use_defaultESD_SD_EEPNS0_10empty_typeENS0_5tupleIJPiSF_EEENSH_IJSI_SG_EEENS0_18inequality_wrapperIN6hipcub16HIPCUB_304000_NS8EqualityEEEPlJSF_EEE10hipError_tPvRmT3_T4_T5_T6_T7_T9_mT8_P12ihipStream_tbDpT10_ENKUlT_T0_E_clISt17integral_constantIbLb1EES19_IbLb0EEEEDaS15_S16_EUlS15_E_NS1_11comp_targetILNS1_3genE3ELNS1_11target_archE908ELNS1_3gpuE7ELNS1_3repE0EEENS1_30default_config_static_selectorELNS0_4arch9wavefront6targetE1EEEvT1_
    .private_segment_fixed_size: 0
    .sgpr_count:     4
    .sgpr_spill_count: 0
    .symbol:         _ZN7rocprim17ROCPRIM_400000_NS6detail17trampoline_kernelINS0_14default_configENS1_25partition_config_selectorILNS1_17partition_subalgoE9EiibEEZZNS1_14partition_implILS5_9ELb0ES3_jPKiN6thrust23THRUST_200600_302600_NS17counting_iteratorIiNSB_11use_defaultESD_SD_EEPNS0_10empty_typeENS0_5tupleIJPiSF_EEENSH_IJSI_SG_EEENS0_18inequality_wrapperIN6hipcub16HIPCUB_304000_NS8EqualityEEEPlJSF_EEE10hipError_tPvRmT3_T4_T5_T6_T7_T9_mT8_P12ihipStream_tbDpT10_ENKUlT_T0_E_clISt17integral_constantIbLb1EES19_IbLb0EEEEDaS15_S16_EUlS15_E_NS1_11comp_targetILNS1_3genE3ELNS1_11target_archE908ELNS1_3gpuE7ELNS1_3repE0EEENS1_30default_config_static_selectorELNS0_4arch9wavefront6targetE1EEEvT1_.kd
    .uniform_work_group_size: 1
    .uses_dynamic_stack: false
    .vgpr_count:     0
    .vgpr_spill_count: 0
    .wavefront_size: 64
  - .agpr_count:     0
    .args:
      - .offset:         0
        .size:           112
        .value_kind:     by_value
    .group_segment_fixed_size: 0
    .kernarg_segment_align: 8
    .kernarg_segment_size: 112
    .language:       OpenCL C
    .language_version:
      - 2
      - 0
    .max_flat_workgroup_size: 256
    .name:           _ZN7rocprim17ROCPRIM_400000_NS6detail17trampoline_kernelINS0_14default_configENS1_25partition_config_selectorILNS1_17partition_subalgoE9EiibEEZZNS1_14partition_implILS5_9ELb0ES3_jPKiN6thrust23THRUST_200600_302600_NS17counting_iteratorIiNSB_11use_defaultESD_SD_EEPNS0_10empty_typeENS0_5tupleIJPiSF_EEENSH_IJSI_SG_EEENS0_18inequality_wrapperIN6hipcub16HIPCUB_304000_NS8EqualityEEEPlJSF_EEE10hipError_tPvRmT3_T4_T5_T6_T7_T9_mT8_P12ihipStream_tbDpT10_ENKUlT_T0_E_clISt17integral_constantIbLb1EES19_IbLb0EEEEDaS15_S16_EUlS15_E_NS1_11comp_targetILNS1_3genE2ELNS1_11target_archE906ELNS1_3gpuE6ELNS1_3repE0EEENS1_30default_config_static_selectorELNS0_4arch9wavefront6targetE1EEEvT1_
    .private_segment_fixed_size: 0
    .sgpr_count:     4
    .sgpr_spill_count: 0
    .symbol:         _ZN7rocprim17ROCPRIM_400000_NS6detail17trampoline_kernelINS0_14default_configENS1_25partition_config_selectorILNS1_17partition_subalgoE9EiibEEZZNS1_14partition_implILS5_9ELb0ES3_jPKiN6thrust23THRUST_200600_302600_NS17counting_iteratorIiNSB_11use_defaultESD_SD_EEPNS0_10empty_typeENS0_5tupleIJPiSF_EEENSH_IJSI_SG_EEENS0_18inequality_wrapperIN6hipcub16HIPCUB_304000_NS8EqualityEEEPlJSF_EEE10hipError_tPvRmT3_T4_T5_T6_T7_T9_mT8_P12ihipStream_tbDpT10_ENKUlT_T0_E_clISt17integral_constantIbLb1EES19_IbLb0EEEEDaS15_S16_EUlS15_E_NS1_11comp_targetILNS1_3genE2ELNS1_11target_archE906ELNS1_3gpuE6ELNS1_3repE0EEENS1_30default_config_static_selectorELNS0_4arch9wavefront6targetE1EEEvT1_.kd
    .uniform_work_group_size: 1
    .uses_dynamic_stack: false
    .vgpr_count:     0
    .vgpr_spill_count: 0
    .wavefront_size: 64
  - .agpr_count:     0
    .args:
      - .offset:         0
        .size:           112
        .value_kind:     by_value
    .group_segment_fixed_size: 0
    .kernarg_segment_align: 8
    .kernarg_segment_size: 112
    .language:       OpenCL C
    .language_version:
      - 2
      - 0
    .max_flat_workgroup_size: 384
    .name:           _ZN7rocprim17ROCPRIM_400000_NS6detail17trampoline_kernelINS0_14default_configENS1_25partition_config_selectorILNS1_17partition_subalgoE9EiibEEZZNS1_14partition_implILS5_9ELb0ES3_jPKiN6thrust23THRUST_200600_302600_NS17counting_iteratorIiNSB_11use_defaultESD_SD_EEPNS0_10empty_typeENS0_5tupleIJPiSF_EEENSH_IJSI_SG_EEENS0_18inequality_wrapperIN6hipcub16HIPCUB_304000_NS8EqualityEEEPlJSF_EEE10hipError_tPvRmT3_T4_T5_T6_T7_T9_mT8_P12ihipStream_tbDpT10_ENKUlT_T0_E_clISt17integral_constantIbLb1EES19_IbLb0EEEEDaS15_S16_EUlS15_E_NS1_11comp_targetILNS1_3genE10ELNS1_11target_archE1200ELNS1_3gpuE4ELNS1_3repE0EEENS1_30default_config_static_selectorELNS0_4arch9wavefront6targetE1EEEvT1_
    .private_segment_fixed_size: 0
    .sgpr_count:     4
    .sgpr_spill_count: 0
    .symbol:         _ZN7rocprim17ROCPRIM_400000_NS6detail17trampoline_kernelINS0_14default_configENS1_25partition_config_selectorILNS1_17partition_subalgoE9EiibEEZZNS1_14partition_implILS5_9ELb0ES3_jPKiN6thrust23THRUST_200600_302600_NS17counting_iteratorIiNSB_11use_defaultESD_SD_EEPNS0_10empty_typeENS0_5tupleIJPiSF_EEENSH_IJSI_SG_EEENS0_18inequality_wrapperIN6hipcub16HIPCUB_304000_NS8EqualityEEEPlJSF_EEE10hipError_tPvRmT3_T4_T5_T6_T7_T9_mT8_P12ihipStream_tbDpT10_ENKUlT_T0_E_clISt17integral_constantIbLb1EES19_IbLb0EEEEDaS15_S16_EUlS15_E_NS1_11comp_targetILNS1_3genE10ELNS1_11target_archE1200ELNS1_3gpuE4ELNS1_3repE0EEENS1_30default_config_static_selectorELNS0_4arch9wavefront6targetE1EEEvT1_.kd
    .uniform_work_group_size: 1
    .uses_dynamic_stack: false
    .vgpr_count:     0
    .vgpr_spill_count: 0
    .wavefront_size: 64
  - .agpr_count:     0
    .args:
      - .offset:         0
        .size:           112
        .value_kind:     by_value
    .group_segment_fixed_size: 0
    .kernarg_segment_align: 8
    .kernarg_segment_size: 112
    .language:       OpenCL C
    .language_version:
      - 2
      - 0
    .max_flat_workgroup_size: 384
    .name:           _ZN7rocprim17ROCPRIM_400000_NS6detail17trampoline_kernelINS0_14default_configENS1_25partition_config_selectorILNS1_17partition_subalgoE9EiibEEZZNS1_14partition_implILS5_9ELb0ES3_jPKiN6thrust23THRUST_200600_302600_NS17counting_iteratorIiNSB_11use_defaultESD_SD_EEPNS0_10empty_typeENS0_5tupleIJPiSF_EEENSH_IJSI_SG_EEENS0_18inequality_wrapperIN6hipcub16HIPCUB_304000_NS8EqualityEEEPlJSF_EEE10hipError_tPvRmT3_T4_T5_T6_T7_T9_mT8_P12ihipStream_tbDpT10_ENKUlT_T0_E_clISt17integral_constantIbLb1EES19_IbLb0EEEEDaS15_S16_EUlS15_E_NS1_11comp_targetILNS1_3genE9ELNS1_11target_archE1100ELNS1_3gpuE3ELNS1_3repE0EEENS1_30default_config_static_selectorELNS0_4arch9wavefront6targetE1EEEvT1_
    .private_segment_fixed_size: 0
    .sgpr_count:     4
    .sgpr_spill_count: 0
    .symbol:         _ZN7rocprim17ROCPRIM_400000_NS6detail17trampoline_kernelINS0_14default_configENS1_25partition_config_selectorILNS1_17partition_subalgoE9EiibEEZZNS1_14partition_implILS5_9ELb0ES3_jPKiN6thrust23THRUST_200600_302600_NS17counting_iteratorIiNSB_11use_defaultESD_SD_EEPNS0_10empty_typeENS0_5tupleIJPiSF_EEENSH_IJSI_SG_EEENS0_18inequality_wrapperIN6hipcub16HIPCUB_304000_NS8EqualityEEEPlJSF_EEE10hipError_tPvRmT3_T4_T5_T6_T7_T9_mT8_P12ihipStream_tbDpT10_ENKUlT_T0_E_clISt17integral_constantIbLb1EES19_IbLb0EEEEDaS15_S16_EUlS15_E_NS1_11comp_targetILNS1_3genE9ELNS1_11target_archE1100ELNS1_3gpuE3ELNS1_3repE0EEENS1_30default_config_static_selectorELNS0_4arch9wavefront6targetE1EEEvT1_.kd
    .uniform_work_group_size: 1
    .uses_dynamic_stack: false
    .vgpr_count:     0
    .vgpr_spill_count: 0
    .wavefront_size: 64
  - .agpr_count:     0
    .args:
      - .offset:         0
        .size:           112
        .value_kind:     by_value
    .group_segment_fixed_size: 0
    .kernarg_segment_align: 8
    .kernarg_segment_size: 112
    .language:       OpenCL C
    .language_version:
      - 2
      - 0
    .max_flat_workgroup_size: 512
    .name:           _ZN7rocprim17ROCPRIM_400000_NS6detail17trampoline_kernelINS0_14default_configENS1_25partition_config_selectorILNS1_17partition_subalgoE9EiibEEZZNS1_14partition_implILS5_9ELb0ES3_jPKiN6thrust23THRUST_200600_302600_NS17counting_iteratorIiNSB_11use_defaultESD_SD_EEPNS0_10empty_typeENS0_5tupleIJPiSF_EEENSH_IJSI_SG_EEENS0_18inequality_wrapperIN6hipcub16HIPCUB_304000_NS8EqualityEEEPlJSF_EEE10hipError_tPvRmT3_T4_T5_T6_T7_T9_mT8_P12ihipStream_tbDpT10_ENKUlT_T0_E_clISt17integral_constantIbLb1EES19_IbLb0EEEEDaS15_S16_EUlS15_E_NS1_11comp_targetILNS1_3genE8ELNS1_11target_archE1030ELNS1_3gpuE2ELNS1_3repE0EEENS1_30default_config_static_selectorELNS0_4arch9wavefront6targetE1EEEvT1_
    .private_segment_fixed_size: 0
    .sgpr_count:     4
    .sgpr_spill_count: 0
    .symbol:         _ZN7rocprim17ROCPRIM_400000_NS6detail17trampoline_kernelINS0_14default_configENS1_25partition_config_selectorILNS1_17partition_subalgoE9EiibEEZZNS1_14partition_implILS5_9ELb0ES3_jPKiN6thrust23THRUST_200600_302600_NS17counting_iteratorIiNSB_11use_defaultESD_SD_EEPNS0_10empty_typeENS0_5tupleIJPiSF_EEENSH_IJSI_SG_EEENS0_18inequality_wrapperIN6hipcub16HIPCUB_304000_NS8EqualityEEEPlJSF_EEE10hipError_tPvRmT3_T4_T5_T6_T7_T9_mT8_P12ihipStream_tbDpT10_ENKUlT_T0_E_clISt17integral_constantIbLb1EES19_IbLb0EEEEDaS15_S16_EUlS15_E_NS1_11comp_targetILNS1_3genE8ELNS1_11target_archE1030ELNS1_3gpuE2ELNS1_3repE0EEENS1_30default_config_static_selectorELNS0_4arch9wavefront6targetE1EEEvT1_.kd
    .uniform_work_group_size: 1
    .uses_dynamic_stack: false
    .vgpr_count:     0
    .vgpr_spill_count: 0
    .wavefront_size: 64
  - .agpr_count:     0
    .args:
      - .address_space:  global
        .offset:         0
        .size:           8
        .value_kind:     global_buffer
      - .offset:         8
        .size:           4
        .value_kind:     by_value
      - .address_space:  global
        .offset:         16
        .size:           8
        .value_kind:     global_buffer
      - .offset:         24
        .size:           4
        .value_kind:     by_value
      - .address_space:  global
        .offset:         32
        .size:           8
        .value_kind:     global_buffer
      - .offset:         40
        .size:           4
        .value_kind:     hidden_block_count_x
      - .offset:         44
        .size:           4
        .value_kind:     hidden_block_count_y
      - .offset:         48
        .size:           4
        .value_kind:     hidden_block_count_z
      - .offset:         52
        .size:           2
        .value_kind:     hidden_group_size_x
      - .offset:         54
        .size:           2
        .value_kind:     hidden_group_size_y
      - .offset:         56
        .size:           2
        .value_kind:     hidden_group_size_z
      - .offset:         58
        .size:           2
        .value_kind:     hidden_remainder_x
      - .offset:         60
        .size:           2
        .value_kind:     hidden_remainder_y
      - .offset:         62
        .size:           2
        .value_kind:     hidden_remainder_z
      - .offset:         80
        .size:           8
        .value_kind:     hidden_global_offset_x
      - .offset:         88
        .size:           8
        .value_kind:     hidden_global_offset_y
      - .offset:         96
        .size:           8
        .value_kind:     hidden_global_offset_z
      - .offset:         104
        .size:           2
        .value_kind:     hidden_grid_dims
    .group_segment_fixed_size: 0
    .kernarg_segment_align: 8
    .kernarg_segment_size: 296
    .language:       OpenCL C
    .language_version:
      - 2
      - 0
    .max_flat_workgroup_size: 256
    .name:           _ZN7rocprim17ROCPRIM_400000_NS6detail31init_lookback_scan_state_kernelINS1_19lookback_scan_stateIjLb0ELb1EEENS1_16block_id_wrapperIjLb1EEEEEvT_jT0_jPNS7_10value_typeE
    .private_segment_fixed_size: 0
    .sgpr_count:     15
    .sgpr_spill_count: 0
    .symbol:         _ZN7rocprim17ROCPRIM_400000_NS6detail31init_lookback_scan_state_kernelINS1_19lookback_scan_stateIjLb0ELb1EEENS1_16block_id_wrapperIjLb1EEEEEvT_jT0_jPNS7_10value_typeE.kd
    .uniform_work_group_size: 1
    .uses_dynamic_stack: false
    .vgpr_count:     6
    .vgpr_spill_count: 0
    .wavefront_size: 64
  - .agpr_count:     0
    .args:
      - .offset:         0
        .size:           128
        .value_kind:     by_value
    .group_segment_fixed_size: 0
    .kernarg_segment_align: 8
    .kernarg_segment_size: 128
    .language:       OpenCL C
    .language_version:
      - 2
      - 0
    .max_flat_workgroup_size: 256
    .name:           _ZN7rocprim17ROCPRIM_400000_NS6detail17trampoline_kernelINS0_14default_configENS1_25partition_config_selectorILNS1_17partition_subalgoE9EiibEEZZNS1_14partition_implILS5_9ELb0ES3_jPKiN6thrust23THRUST_200600_302600_NS17counting_iteratorIiNSB_11use_defaultESD_SD_EEPNS0_10empty_typeENS0_5tupleIJPiSF_EEENSH_IJSI_SG_EEENS0_18inequality_wrapperIN6hipcub16HIPCUB_304000_NS8EqualityEEEPlJSF_EEE10hipError_tPvRmT3_T4_T5_T6_T7_T9_mT8_P12ihipStream_tbDpT10_ENKUlT_T0_E_clISt17integral_constantIbLb0EES19_IbLb1EEEEDaS15_S16_EUlS15_E_NS1_11comp_targetILNS1_3genE0ELNS1_11target_archE4294967295ELNS1_3gpuE0ELNS1_3repE0EEENS1_30default_config_static_selectorELNS0_4arch9wavefront6targetE1EEEvT1_
    .private_segment_fixed_size: 0
    .sgpr_count:     4
    .sgpr_spill_count: 0
    .symbol:         _ZN7rocprim17ROCPRIM_400000_NS6detail17trampoline_kernelINS0_14default_configENS1_25partition_config_selectorILNS1_17partition_subalgoE9EiibEEZZNS1_14partition_implILS5_9ELb0ES3_jPKiN6thrust23THRUST_200600_302600_NS17counting_iteratorIiNSB_11use_defaultESD_SD_EEPNS0_10empty_typeENS0_5tupleIJPiSF_EEENSH_IJSI_SG_EEENS0_18inequality_wrapperIN6hipcub16HIPCUB_304000_NS8EqualityEEEPlJSF_EEE10hipError_tPvRmT3_T4_T5_T6_T7_T9_mT8_P12ihipStream_tbDpT10_ENKUlT_T0_E_clISt17integral_constantIbLb0EES19_IbLb1EEEEDaS15_S16_EUlS15_E_NS1_11comp_targetILNS1_3genE0ELNS1_11target_archE4294967295ELNS1_3gpuE0ELNS1_3repE0EEENS1_30default_config_static_selectorELNS0_4arch9wavefront6targetE1EEEvT1_.kd
    .uniform_work_group_size: 1
    .uses_dynamic_stack: false
    .vgpr_count:     0
    .vgpr_spill_count: 0
    .wavefront_size: 64
  - .agpr_count:     0
    .args:
      - .offset:         0
        .size:           128
        .value_kind:     by_value
    .group_segment_fixed_size: 0
    .kernarg_segment_align: 8
    .kernarg_segment_size: 128
    .language:       OpenCL C
    .language_version:
      - 2
      - 0
    .max_flat_workgroup_size: 512
    .name:           _ZN7rocprim17ROCPRIM_400000_NS6detail17trampoline_kernelINS0_14default_configENS1_25partition_config_selectorILNS1_17partition_subalgoE9EiibEEZZNS1_14partition_implILS5_9ELb0ES3_jPKiN6thrust23THRUST_200600_302600_NS17counting_iteratorIiNSB_11use_defaultESD_SD_EEPNS0_10empty_typeENS0_5tupleIJPiSF_EEENSH_IJSI_SG_EEENS0_18inequality_wrapperIN6hipcub16HIPCUB_304000_NS8EqualityEEEPlJSF_EEE10hipError_tPvRmT3_T4_T5_T6_T7_T9_mT8_P12ihipStream_tbDpT10_ENKUlT_T0_E_clISt17integral_constantIbLb0EES19_IbLb1EEEEDaS15_S16_EUlS15_E_NS1_11comp_targetILNS1_3genE5ELNS1_11target_archE942ELNS1_3gpuE9ELNS1_3repE0EEENS1_30default_config_static_selectorELNS0_4arch9wavefront6targetE1EEEvT1_
    .private_segment_fixed_size: 0
    .sgpr_count:     4
    .sgpr_spill_count: 0
    .symbol:         _ZN7rocprim17ROCPRIM_400000_NS6detail17trampoline_kernelINS0_14default_configENS1_25partition_config_selectorILNS1_17partition_subalgoE9EiibEEZZNS1_14partition_implILS5_9ELb0ES3_jPKiN6thrust23THRUST_200600_302600_NS17counting_iteratorIiNSB_11use_defaultESD_SD_EEPNS0_10empty_typeENS0_5tupleIJPiSF_EEENSH_IJSI_SG_EEENS0_18inequality_wrapperIN6hipcub16HIPCUB_304000_NS8EqualityEEEPlJSF_EEE10hipError_tPvRmT3_T4_T5_T6_T7_T9_mT8_P12ihipStream_tbDpT10_ENKUlT_T0_E_clISt17integral_constantIbLb0EES19_IbLb1EEEEDaS15_S16_EUlS15_E_NS1_11comp_targetILNS1_3genE5ELNS1_11target_archE942ELNS1_3gpuE9ELNS1_3repE0EEENS1_30default_config_static_selectorELNS0_4arch9wavefront6targetE1EEEvT1_.kd
    .uniform_work_group_size: 1
    .uses_dynamic_stack: false
    .vgpr_count:     0
    .vgpr_spill_count: 0
    .wavefront_size: 64
  - .agpr_count:     0
    .args:
      - .offset:         0
        .size:           128
        .value_kind:     by_value
    .group_segment_fixed_size: 5384
    .kernarg_segment_align: 8
    .kernarg_segment_size: 128
    .language:       OpenCL C
    .language_version:
      - 2
      - 0
    .max_flat_workgroup_size: 192
    .name:           _ZN7rocprim17ROCPRIM_400000_NS6detail17trampoline_kernelINS0_14default_configENS1_25partition_config_selectorILNS1_17partition_subalgoE9EiibEEZZNS1_14partition_implILS5_9ELb0ES3_jPKiN6thrust23THRUST_200600_302600_NS17counting_iteratorIiNSB_11use_defaultESD_SD_EEPNS0_10empty_typeENS0_5tupleIJPiSF_EEENSH_IJSI_SG_EEENS0_18inequality_wrapperIN6hipcub16HIPCUB_304000_NS8EqualityEEEPlJSF_EEE10hipError_tPvRmT3_T4_T5_T6_T7_T9_mT8_P12ihipStream_tbDpT10_ENKUlT_T0_E_clISt17integral_constantIbLb0EES19_IbLb1EEEEDaS15_S16_EUlS15_E_NS1_11comp_targetILNS1_3genE4ELNS1_11target_archE910ELNS1_3gpuE8ELNS1_3repE0EEENS1_30default_config_static_selectorELNS0_4arch9wavefront6targetE1EEEvT1_
    .private_segment_fixed_size: 0
    .sgpr_count:     46
    .sgpr_spill_count: 0
    .symbol:         _ZN7rocprim17ROCPRIM_400000_NS6detail17trampoline_kernelINS0_14default_configENS1_25partition_config_selectorILNS1_17partition_subalgoE9EiibEEZZNS1_14partition_implILS5_9ELb0ES3_jPKiN6thrust23THRUST_200600_302600_NS17counting_iteratorIiNSB_11use_defaultESD_SD_EEPNS0_10empty_typeENS0_5tupleIJPiSF_EEENSH_IJSI_SG_EEENS0_18inequality_wrapperIN6hipcub16HIPCUB_304000_NS8EqualityEEEPlJSF_EEE10hipError_tPvRmT3_T4_T5_T6_T7_T9_mT8_P12ihipStream_tbDpT10_ENKUlT_T0_E_clISt17integral_constantIbLb0EES19_IbLb1EEEEDaS15_S16_EUlS15_E_NS1_11comp_targetILNS1_3genE4ELNS1_11target_archE910ELNS1_3gpuE8ELNS1_3repE0EEENS1_30default_config_static_selectorELNS0_4arch9wavefront6targetE1EEEvT1_.kd
    .uniform_work_group_size: 1
    .uses_dynamic_stack: false
    .vgpr_count:     52
    .vgpr_spill_count: 0
    .wavefront_size: 64
  - .agpr_count:     0
    .args:
      - .offset:         0
        .size:           128
        .value_kind:     by_value
    .group_segment_fixed_size: 0
    .kernarg_segment_align: 8
    .kernarg_segment_size: 128
    .language:       OpenCL C
    .language_version:
      - 2
      - 0
    .max_flat_workgroup_size: 256
    .name:           _ZN7rocprim17ROCPRIM_400000_NS6detail17trampoline_kernelINS0_14default_configENS1_25partition_config_selectorILNS1_17partition_subalgoE9EiibEEZZNS1_14partition_implILS5_9ELb0ES3_jPKiN6thrust23THRUST_200600_302600_NS17counting_iteratorIiNSB_11use_defaultESD_SD_EEPNS0_10empty_typeENS0_5tupleIJPiSF_EEENSH_IJSI_SG_EEENS0_18inequality_wrapperIN6hipcub16HIPCUB_304000_NS8EqualityEEEPlJSF_EEE10hipError_tPvRmT3_T4_T5_T6_T7_T9_mT8_P12ihipStream_tbDpT10_ENKUlT_T0_E_clISt17integral_constantIbLb0EES19_IbLb1EEEEDaS15_S16_EUlS15_E_NS1_11comp_targetILNS1_3genE3ELNS1_11target_archE908ELNS1_3gpuE7ELNS1_3repE0EEENS1_30default_config_static_selectorELNS0_4arch9wavefront6targetE1EEEvT1_
    .private_segment_fixed_size: 0
    .sgpr_count:     4
    .sgpr_spill_count: 0
    .symbol:         _ZN7rocprim17ROCPRIM_400000_NS6detail17trampoline_kernelINS0_14default_configENS1_25partition_config_selectorILNS1_17partition_subalgoE9EiibEEZZNS1_14partition_implILS5_9ELb0ES3_jPKiN6thrust23THRUST_200600_302600_NS17counting_iteratorIiNSB_11use_defaultESD_SD_EEPNS0_10empty_typeENS0_5tupleIJPiSF_EEENSH_IJSI_SG_EEENS0_18inequality_wrapperIN6hipcub16HIPCUB_304000_NS8EqualityEEEPlJSF_EEE10hipError_tPvRmT3_T4_T5_T6_T7_T9_mT8_P12ihipStream_tbDpT10_ENKUlT_T0_E_clISt17integral_constantIbLb0EES19_IbLb1EEEEDaS15_S16_EUlS15_E_NS1_11comp_targetILNS1_3genE3ELNS1_11target_archE908ELNS1_3gpuE7ELNS1_3repE0EEENS1_30default_config_static_selectorELNS0_4arch9wavefront6targetE1EEEvT1_.kd
    .uniform_work_group_size: 1
    .uses_dynamic_stack: false
    .vgpr_count:     0
    .vgpr_spill_count: 0
    .wavefront_size: 64
  - .agpr_count:     0
    .args:
      - .offset:         0
        .size:           128
        .value_kind:     by_value
    .group_segment_fixed_size: 0
    .kernarg_segment_align: 8
    .kernarg_segment_size: 128
    .language:       OpenCL C
    .language_version:
      - 2
      - 0
    .max_flat_workgroup_size: 256
    .name:           _ZN7rocprim17ROCPRIM_400000_NS6detail17trampoline_kernelINS0_14default_configENS1_25partition_config_selectorILNS1_17partition_subalgoE9EiibEEZZNS1_14partition_implILS5_9ELb0ES3_jPKiN6thrust23THRUST_200600_302600_NS17counting_iteratorIiNSB_11use_defaultESD_SD_EEPNS0_10empty_typeENS0_5tupleIJPiSF_EEENSH_IJSI_SG_EEENS0_18inequality_wrapperIN6hipcub16HIPCUB_304000_NS8EqualityEEEPlJSF_EEE10hipError_tPvRmT3_T4_T5_T6_T7_T9_mT8_P12ihipStream_tbDpT10_ENKUlT_T0_E_clISt17integral_constantIbLb0EES19_IbLb1EEEEDaS15_S16_EUlS15_E_NS1_11comp_targetILNS1_3genE2ELNS1_11target_archE906ELNS1_3gpuE6ELNS1_3repE0EEENS1_30default_config_static_selectorELNS0_4arch9wavefront6targetE1EEEvT1_
    .private_segment_fixed_size: 0
    .sgpr_count:     4
    .sgpr_spill_count: 0
    .symbol:         _ZN7rocprim17ROCPRIM_400000_NS6detail17trampoline_kernelINS0_14default_configENS1_25partition_config_selectorILNS1_17partition_subalgoE9EiibEEZZNS1_14partition_implILS5_9ELb0ES3_jPKiN6thrust23THRUST_200600_302600_NS17counting_iteratorIiNSB_11use_defaultESD_SD_EEPNS0_10empty_typeENS0_5tupleIJPiSF_EEENSH_IJSI_SG_EEENS0_18inequality_wrapperIN6hipcub16HIPCUB_304000_NS8EqualityEEEPlJSF_EEE10hipError_tPvRmT3_T4_T5_T6_T7_T9_mT8_P12ihipStream_tbDpT10_ENKUlT_T0_E_clISt17integral_constantIbLb0EES19_IbLb1EEEEDaS15_S16_EUlS15_E_NS1_11comp_targetILNS1_3genE2ELNS1_11target_archE906ELNS1_3gpuE6ELNS1_3repE0EEENS1_30default_config_static_selectorELNS0_4arch9wavefront6targetE1EEEvT1_.kd
    .uniform_work_group_size: 1
    .uses_dynamic_stack: false
    .vgpr_count:     0
    .vgpr_spill_count: 0
    .wavefront_size: 64
  - .agpr_count:     0
    .args:
      - .offset:         0
        .size:           128
        .value_kind:     by_value
    .group_segment_fixed_size: 0
    .kernarg_segment_align: 8
    .kernarg_segment_size: 128
    .language:       OpenCL C
    .language_version:
      - 2
      - 0
    .max_flat_workgroup_size: 384
    .name:           _ZN7rocprim17ROCPRIM_400000_NS6detail17trampoline_kernelINS0_14default_configENS1_25partition_config_selectorILNS1_17partition_subalgoE9EiibEEZZNS1_14partition_implILS5_9ELb0ES3_jPKiN6thrust23THRUST_200600_302600_NS17counting_iteratorIiNSB_11use_defaultESD_SD_EEPNS0_10empty_typeENS0_5tupleIJPiSF_EEENSH_IJSI_SG_EEENS0_18inequality_wrapperIN6hipcub16HIPCUB_304000_NS8EqualityEEEPlJSF_EEE10hipError_tPvRmT3_T4_T5_T6_T7_T9_mT8_P12ihipStream_tbDpT10_ENKUlT_T0_E_clISt17integral_constantIbLb0EES19_IbLb1EEEEDaS15_S16_EUlS15_E_NS1_11comp_targetILNS1_3genE10ELNS1_11target_archE1200ELNS1_3gpuE4ELNS1_3repE0EEENS1_30default_config_static_selectorELNS0_4arch9wavefront6targetE1EEEvT1_
    .private_segment_fixed_size: 0
    .sgpr_count:     4
    .sgpr_spill_count: 0
    .symbol:         _ZN7rocprim17ROCPRIM_400000_NS6detail17trampoline_kernelINS0_14default_configENS1_25partition_config_selectorILNS1_17partition_subalgoE9EiibEEZZNS1_14partition_implILS5_9ELb0ES3_jPKiN6thrust23THRUST_200600_302600_NS17counting_iteratorIiNSB_11use_defaultESD_SD_EEPNS0_10empty_typeENS0_5tupleIJPiSF_EEENSH_IJSI_SG_EEENS0_18inequality_wrapperIN6hipcub16HIPCUB_304000_NS8EqualityEEEPlJSF_EEE10hipError_tPvRmT3_T4_T5_T6_T7_T9_mT8_P12ihipStream_tbDpT10_ENKUlT_T0_E_clISt17integral_constantIbLb0EES19_IbLb1EEEEDaS15_S16_EUlS15_E_NS1_11comp_targetILNS1_3genE10ELNS1_11target_archE1200ELNS1_3gpuE4ELNS1_3repE0EEENS1_30default_config_static_selectorELNS0_4arch9wavefront6targetE1EEEvT1_.kd
    .uniform_work_group_size: 1
    .uses_dynamic_stack: false
    .vgpr_count:     0
    .vgpr_spill_count: 0
    .wavefront_size: 64
  - .agpr_count:     0
    .args:
      - .offset:         0
        .size:           128
        .value_kind:     by_value
    .group_segment_fixed_size: 0
    .kernarg_segment_align: 8
    .kernarg_segment_size: 128
    .language:       OpenCL C
    .language_version:
      - 2
      - 0
    .max_flat_workgroup_size: 384
    .name:           _ZN7rocprim17ROCPRIM_400000_NS6detail17trampoline_kernelINS0_14default_configENS1_25partition_config_selectorILNS1_17partition_subalgoE9EiibEEZZNS1_14partition_implILS5_9ELb0ES3_jPKiN6thrust23THRUST_200600_302600_NS17counting_iteratorIiNSB_11use_defaultESD_SD_EEPNS0_10empty_typeENS0_5tupleIJPiSF_EEENSH_IJSI_SG_EEENS0_18inequality_wrapperIN6hipcub16HIPCUB_304000_NS8EqualityEEEPlJSF_EEE10hipError_tPvRmT3_T4_T5_T6_T7_T9_mT8_P12ihipStream_tbDpT10_ENKUlT_T0_E_clISt17integral_constantIbLb0EES19_IbLb1EEEEDaS15_S16_EUlS15_E_NS1_11comp_targetILNS1_3genE9ELNS1_11target_archE1100ELNS1_3gpuE3ELNS1_3repE0EEENS1_30default_config_static_selectorELNS0_4arch9wavefront6targetE1EEEvT1_
    .private_segment_fixed_size: 0
    .sgpr_count:     4
    .sgpr_spill_count: 0
    .symbol:         _ZN7rocprim17ROCPRIM_400000_NS6detail17trampoline_kernelINS0_14default_configENS1_25partition_config_selectorILNS1_17partition_subalgoE9EiibEEZZNS1_14partition_implILS5_9ELb0ES3_jPKiN6thrust23THRUST_200600_302600_NS17counting_iteratorIiNSB_11use_defaultESD_SD_EEPNS0_10empty_typeENS0_5tupleIJPiSF_EEENSH_IJSI_SG_EEENS0_18inequality_wrapperIN6hipcub16HIPCUB_304000_NS8EqualityEEEPlJSF_EEE10hipError_tPvRmT3_T4_T5_T6_T7_T9_mT8_P12ihipStream_tbDpT10_ENKUlT_T0_E_clISt17integral_constantIbLb0EES19_IbLb1EEEEDaS15_S16_EUlS15_E_NS1_11comp_targetILNS1_3genE9ELNS1_11target_archE1100ELNS1_3gpuE3ELNS1_3repE0EEENS1_30default_config_static_selectorELNS0_4arch9wavefront6targetE1EEEvT1_.kd
    .uniform_work_group_size: 1
    .uses_dynamic_stack: false
    .vgpr_count:     0
    .vgpr_spill_count: 0
    .wavefront_size: 64
  - .agpr_count:     0
    .args:
      - .offset:         0
        .size:           128
        .value_kind:     by_value
    .group_segment_fixed_size: 0
    .kernarg_segment_align: 8
    .kernarg_segment_size: 128
    .language:       OpenCL C
    .language_version:
      - 2
      - 0
    .max_flat_workgroup_size: 512
    .name:           _ZN7rocprim17ROCPRIM_400000_NS6detail17trampoline_kernelINS0_14default_configENS1_25partition_config_selectorILNS1_17partition_subalgoE9EiibEEZZNS1_14partition_implILS5_9ELb0ES3_jPKiN6thrust23THRUST_200600_302600_NS17counting_iteratorIiNSB_11use_defaultESD_SD_EEPNS0_10empty_typeENS0_5tupleIJPiSF_EEENSH_IJSI_SG_EEENS0_18inequality_wrapperIN6hipcub16HIPCUB_304000_NS8EqualityEEEPlJSF_EEE10hipError_tPvRmT3_T4_T5_T6_T7_T9_mT8_P12ihipStream_tbDpT10_ENKUlT_T0_E_clISt17integral_constantIbLb0EES19_IbLb1EEEEDaS15_S16_EUlS15_E_NS1_11comp_targetILNS1_3genE8ELNS1_11target_archE1030ELNS1_3gpuE2ELNS1_3repE0EEENS1_30default_config_static_selectorELNS0_4arch9wavefront6targetE1EEEvT1_
    .private_segment_fixed_size: 0
    .sgpr_count:     4
    .sgpr_spill_count: 0
    .symbol:         _ZN7rocprim17ROCPRIM_400000_NS6detail17trampoline_kernelINS0_14default_configENS1_25partition_config_selectorILNS1_17partition_subalgoE9EiibEEZZNS1_14partition_implILS5_9ELb0ES3_jPKiN6thrust23THRUST_200600_302600_NS17counting_iteratorIiNSB_11use_defaultESD_SD_EEPNS0_10empty_typeENS0_5tupleIJPiSF_EEENSH_IJSI_SG_EEENS0_18inequality_wrapperIN6hipcub16HIPCUB_304000_NS8EqualityEEEPlJSF_EEE10hipError_tPvRmT3_T4_T5_T6_T7_T9_mT8_P12ihipStream_tbDpT10_ENKUlT_T0_E_clISt17integral_constantIbLb0EES19_IbLb1EEEEDaS15_S16_EUlS15_E_NS1_11comp_targetILNS1_3genE8ELNS1_11target_archE1030ELNS1_3gpuE2ELNS1_3repE0EEENS1_30default_config_static_selectorELNS0_4arch9wavefront6targetE1EEEvT1_.kd
    .uniform_work_group_size: 1
    .uses_dynamic_stack: false
    .vgpr_count:     0
    .vgpr_spill_count: 0
    .wavefront_size: 64
  - .agpr_count:     0
    .args:
      - .offset:         0
        .size:           112
        .value_kind:     by_value
    .group_segment_fixed_size: 0
    .kernarg_segment_align: 8
    .kernarg_segment_size: 112
    .language:       OpenCL C
    .language_version:
      - 2
      - 0
    .max_flat_workgroup_size: 128
    .name:           _ZN7rocprim17ROCPRIM_400000_NS6detail17trampoline_kernelINS0_14default_configENS1_25partition_config_selectorILNS1_17partition_subalgoE9EllbEEZZNS1_14partition_implILS5_9ELb0ES3_jPKlN6thrust23THRUST_200600_302600_NS17counting_iteratorIlNSB_11use_defaultESD_SD_EEPNS0_10empty_typeENS0_5tupleIJPlSF_EEENSH_IJSI_SG_EEENS0_18inequality_wrapperIN6hipcub16HIPCUB_304000_NS8EqualityEEESI_JSF_EEE10hipError_tPvRmT3_T4_T5_T6_T7_T9_mT8_P12ihipStream_tbDpT10_ENKUlT_T0_E_clISt17integral_constantIbLb0EES19_EEDaS14_S15_EUlS14_E_NS1_11comp_targetILNS1_3genE0ELNS1_11target_archE4294967295ELNS1_3gpuE0ELNS1_3repE0EEENS1_30default_config_static_selectorELNS0_4arch9wavefront6targetE1EEEvT1_
    .private_segment_fixed_size: 0
    .sgpr_count:     4
    .sgpr_spill_count: 0
    .symbol:         _ZN7rocprim17ROCPRIM_400000_NS6detail17trampoline_kernelINS0_14default_configENS1_25partition_config_selectorILNS1_17partition_subalgoE9EllbEEZZNS1_14partition_implILS5_9ELb0ES3_jPKlN6thrust23THRUST_200600_302600_NS17counting_iteratorIlNSB_11use_defaultESD_SD_EEPNS0_10empty_typeENS0_5tupleIJPlSF_EEENSH_IJSI_SG_EEENS0_18inequality_wrapperIN6hipcub16HIPCUB_304000_NS8EqualityEEESI_JSF_EEE10hipError_tPvRmT3_T4_T5_T6_T7_T9_mT8_P12ihipStream_tbDpT10_ENKUlT_T0_E_clISt17integral_constantIbLb0EES19_EEDaS14_S15_EUlS14_E_NS1_11comp_targetILNS1_3genE0ELNS1_11target_archE4294967295ELNS1_3gpuE0ELNS1_3repE0EEENS1_30default_config_static_selectorELNS0_4arch9wavefront6targetE1EEEvT1_.kd
    .uniform_work_group_size: 1
    .uses_dynamic_stack: false
    .vgpr_count:     0
    .vgpr_spill_count: 0
    .wavefront_size: 64
  - .agpr_count:     0
    .args:
      - .offset:         0
        .size:           112
        .value_kind:     by_value
    .group_segment_fixed_size: 0
    .kernarg_segment_align: 8
    .kernarg_segment_size: 112
    .language:       OpenCL C
    .language_version:
      - 2
      - 0
    .max_flat_workgroup_size: 512
    .name:           _ZN7rocprim17ROCPRIM_400000_NS6detail17trampoline_kernelINS0_14default_configENS1_25partition_config_selectorILNS1_17partition_subalgoE9EllbEEZZNS1_14partition_implILS5_9ELb0ES3_jPKlN6thrust23THRUST_200600_302600_NS17counting_iteratorIlNSB_11use_defaultESD_SD_EEPNS0_10empty_typeENS0_5tupleIJPlSF_EEENSH_IJSI_SG_EEENS0_18inequality_wrapperIN6hipcub16HIPCUB_304000_NS8EqualityEEESI_JSF_EEE10hipError_tPvRmT3_T4_T5_T6_T7_T9_mT8_P12ihipStream_tbDpT10_ENKUlT_T0_E_clISt17integral_constantIbLb0EES19_EEDaS14_S15_EUlS14_E_NS1_11comp_targetILNS1_3genE5ELNS1_11target_archE942ELNS1_3gpuE9ELNS1_3repE0EEENS1_30default_config_static_selectorELNS0_4arch9wavefront6targetE1EEEvT1_
    .private_segment_fixed_size: 0
    .sgpr_count:     4
    .sgpr_spill_count: 0
    .symbol:         _ZN7rocprim17ROCPRIM_400000_NS6detail17trampoline_kernelINS0_14default_configENS1_25partition_config_selectorILNS1_17partition_subalgoE9EllbEEZZNS1_14partition_implILS5_9ELb0ES3_jPKlN6thrust23THRUST_200600_302600_NS17counting_iteratorIlNSB_11use_defaultESD_SD_EEPNS0_10empty_typeENS0_5tupleIJPlSF_EEENSH_IJSI_SG_EEENS0_18inequality_wrapperIN6hipcub16HIPCUB_304000_NS8EqualityEEESI_JSF_EEE10hipError_tPvRmT3_T4_T5_T6_T7_T9_mT8_P12ihipStream_tbDpT10_ENKUlT_T0_E_clISt17integral_constantIbLb0EES19_EEDaS14_S15_EUlS14_E_NS1_11comp_targetILNS1_3genE5ELNS1_11target_archE942ELNS1_3gpuE9ELNS1_3repE0EEENS1_30default_config_static_selectorELNS0_4arch9wavefront6targetE1EEEvT1_.kd
    .uniform_work_group_size: 1
    .uses_dynamic_stack: false
    .vgpr_count:     0
    .vgpr_spill_count: 0
    .wavefront_size: 64
  - .agpr_count:     0
    .args:
      - .offset:         0
        .size:           112
        .value_kind:     by_value
    .group_segment_fixed_size: 4232
    .kernarg_segment_align: 8
    .kernarg_segment_size: 112
    .language:       OpenCL C
    .language_version:
      - 2
      - 0
    .max_flat_workgroup_size: 128
    .name:           _ZN7rocprim17ROCPRIM_400000_NS6detail17trampoline_kernelINS0_14default_configENS1_25partition_config_selectorILNS1_17partition_subalgoE9EllbEEZZNS1_14partition_implILS5_9ELb0ES3_jPKlN6thrust23THRUST_200600_302600_NS17counting_iteratorIlNSB_11use_defaultESD_SD_EEPNS0_10empty_typeENS0_5tupleIJPlSF_EEENSH_IJSI_SG_EEENS0_18inequality_wrapperIN6hipcub16HIPCUB_304000_NS8EqualityEEESI_JSF_EEE10hipError_tPvRmT3_T4_T5_T6_T7_T9_mT8_P12ihipStream_tbDpT10_ENKUlT_T0_E_clISt17integral_constantIbLb0EES19_EEDaS14_S15_EUlS14_E_NS1_11comp_targetILNS1_3genE4ELNS1_11target_archE910ELNS1_3gpuE8ELNS1_3repE0EEENS1_30default_config_static_selectorELNS0_4arch9wavefront6targetE1EEEvT1_
    .private_segment_fixed_size: 0
    .sgpr_count:     46
    .sgpr_spill_count: 0
    .symbol:         _ZN7rocprim17ROCPRIM_400000_NS6detail17trampoline_kernelINS0_14default_configENS1_25partition_config_selectorILNS1_17partition_subalgoE9EllbEEZZNS1_14partition_implILS5_9ELb0ES3_jPKlN6thrust23THRUST_200600_302600_NS17counting_iteratorIlNSB_11use_defaultESD_SD_EEPNS0_10empty_typeENS0_5tupleIJPlSF_EEENSH_IJSI_SG_EEENS0_18inequality_wrapperIN6hipcub16HIPCUB_304000_NS8EqualityEEESI_JSF_EEE10hipError_tPvRmT3_T4_T5_T6_T7_T9_mT8_P12ihipStream_tbDpT10_ENKUlT_T0_E_clISt17integral_constantIbLb0EES19_EEDaS14_S15_EUlS14_E_NS1_11comp_targetILNS1_3genE4ELNS1_11target_archE910ELNS1_3gpuE8ELNS1_3repE0EEENS1_30default_config_static_selectorELNS0_4arch9wavefront6targetE1EEEvT1_.kd
    .uniform_work_group_size: 1
    .uses_dynamic_stack: false
    .vgpr_count:     50
    .vgpr_spill_count: 0
    .wavefront_size: 64
  - .agpr_count:     0
    .args:
      - .offset:         0
        .size:           112
        .value_kind:     by_value
    .group_segment_fixed_size: 0
    .kernarg_segment_align: 8
    .kernarg_segment_size: 112
    .language:       OpenCL C
    .language_version:
      - 2
      - 0
    .max_flat_workgroup_size: 128
    .name:           _ZN7rocprim17ROCPRIM_400000_NS6detail17trampoline_kernelINS0_14default_configENS1_25partition_config_selectorILNS1_17partition_subalgoE9EllbEEZZNS1_14partition_implILS5_9ELb0ES3_jPKlN6thrust23THRUST_200600_302600_NS17counting_iteratorIlNSB_11use_defaultESD_SD_EEPNS0_10empty_typeENS0_5tupleIJPlSF_EEENSH_IJSI_SG_EEENS0_18inequality_wrapperIN6hipcub16HIPCUB_304000_NS8EqualityEEESI_JSF_EEE10hipError_tPvRmT3_T4_T5_T6_T7_T9_mT8_P12ihipStream_tbDpT10_ENKUlT_T0_E_clISt17integral_constantIbLb0EES19_EEDaS14_S15_EUlS14_E_NS1_11comp_targetILNS1_3genE3ELNS1_11target_archE908ELNS1_3gpuE7ELNS1_3repE0EEENS1_30default_config_static_selectorELNS0_4arch9wavefront6targetE1EEEvT1_
    .private_segment_fixed_size: 0
    .sgpr_count:     4
    .sgpr_spill_count: 0
    .symbol:         _ZN7rocprim17ROCPRIM_400000_NS6detail17trampoline_kernelINS0_14default_configENS1_25partition_config_selectorILNS1_17partition_subalgoE9EllbEEZZNS1_14partition_implILS5_9ELb0ES3_jPKlN6thrust23THRUST_200600_302600_NS17counting_iteratorIlNSB_11use_defaultESD_SD_EEPNS0_10empty_typeENS0_5tupleIJPlSF_EEENSH_IJSI_SG_EEENS0_18inequality_wrapperIN6hipcub16HIPCUB_304000_NS8EqualityEEESI_JSF_EEE10hipError_tPvRmT3_T4_T5_T6_T7_T9_mT8_P12ihipStream_tbDpT10_ENKUlT_T0_E_clISt17integral_constantIbLb0EES19_EEDaS14_S15_EUlS14_E_NS1_11comp_targetILNS1_3genE3ELNS1_11target_archE908ELNS1_3gpuE7ELNS1_3repE0EEENS1_30default_config_static_selectorELNS0_4arch9wavefront6targetE1EEEvT1_.kd
    .uniform_work_group_size: 1
    .uses_dynamic_stack: false
    .vgpr_count:     0
    .vgpr_spill_count: 0
    .wavefront_size: 64
  - .agpr_count:     0
    .args:
      - .offset:         0
        .size:           112
        .value_kind:     by_value
    .group_segment_fixed_size: 0
    .kernarg_segment_align: 8
    .kernarg_segment_size: 112
    .language:       OpenCL C
    .language_version:
      - 2
      - 0
    .max_flat_workgroup_size: 192
    .name:           _ZN7rocprim17ROCPRIM_400000_NS6detail17trampoline_kernelINS0_14default_configENS1_25partition_config_selectorILNS1_17partition_subalgoE9EllbEEZZNS1_14partition_implILS5_9ELb0ES3_jPKlN6thrust23THRUST_200600_302600_NS17counting_iteratorIlNSB_11use_defaultESD_SD_EEPNS0_10empty_typeENS0_5tupleIJPlSF_EEENSH_IJSI_SG_EEENS0_18inequality_wrapperIN6hipcub16HIPCUB_304000_NS8EqualityEEESI_JSF_EEE10hipError_tPvRmT3_T4_T5_T6_T7_T9_mT8_P12ihipStream_tbDpT10_ENKUlT_T0_E_clISt17integral_constantIbLb0EES19_EEDaS14_S15_EUlS14_E_NS1_11comp_targetILNS1_3genE2ELNS1_11target_archE906ELNS1_3gpuE6ELNS1_3repE0EEENS1_30default_config_static_selectorELNS0_4arch9wavefront6targetE1EEEvT1_
    .private_segment_fixed_size: 0
    .sgpr_count:     4
    .sgpr_spill_count: 0
    .symbol:         _ZN7rocprim17ROCPRIM_400000_NS6detail17trampoline_kernelINS0_14default_configENS1_25partition_config_selectorILNS1_17partition_subalgoE9EllbEEZZNS1_14partition_implILS5_9ELb0ES3_jPKlN6thrust23THRUST_200600_302600_NS17counting_iteratorIlNSB_11use_defaultESD_SD_EEPNS0_10empty_typeENS0_5tupleIJPlSF_EEENSH_IJSI_SG_EEENS0_18inequality_wrapperIN6hipcub16HIPCUB_304000_NS8EqualityEEESI_JSF_EEE10hipError_tPvRmT3_T4_T5_T6_T7_T9_mT8_P12ihipStream_tbDpT10_ENKUlT_T0_E_clISt17integral_constantIbLb0EES19_EEDaS14_S15_EUlS14_E_NS1_11comp_targetILNS1_3genE2ELNS1_11target_archE906ELNS1_3gpuE6ELNS1_3repE0EEENS1_30default_config_static_selectorELNS0_4arch9wavefront6targetE1EEEvT1_.kd
    .uniform_work_group_size: 1
    .uses_dynamic_stack: false
    .vgpr_count:     0
    .vgpr_spill_count: 0
    .wavefront_size: 64
  - .agpr_count:     0
    .args:
      - .offset:         0
        .size:           112
        .value_kind:     by_value
    .group_segment_fixed_size: 0
    .kernarg_segment_align: 8
    .kernarg_segment_size: 112
    .language:       OpenCL C
    .language_version:
      - 2
      - 0
    .max_flat_workgroup_size: 384
    .name:           _ZN7rocprim17ROCPRIM_400000_NS6detail17trampoline_kernelINS0_14default_configENS1_25partition_config_selectorILNS1_17partition_subalgoE9EllbEEZZNS1_14partition_implILS5_9ELb0ES3_jPKlN6thrust23THRUST_200600_302600_NS17counting_iteratorIlNSB_11use_defaultESD_SD_EEPNS0_10empty_typeENS0_5tupleIJPlSF_EEENSH_IJSI_SG_EEENS0_18inequality_wrapperIN6hipcub16HIPCUB_304000_NS8EqualityEEESI_JSF_EEE10hipError_tPvRmT3_T4_T5_T6_T7_T9_mT8_P12ihipStream_tbDpT10_ENKUlT_T0_E_clISt17integral_constantIbLb0EES19_EEDaS14_S15_EUlS14_E_NS1_11comp_targetILNS1_3genE10ELNS1_11target_archE1200ELNS1_3gpuE4ELNS1_3repE0EEENS1_30default_config_static_selectorELNS0_4arch9wavefront6targetE1EEEvT1_
    .private_segment_fixed_size: 0
    .sgpr_count:     4
    .sgpr_spill_count: 0
    .symbol:         _ZN7rocprim17ROCPRIM_400000_NS6detail17trampoline_kernelINS0_14default_configENS1_25partition_config_selectorILNS1_17partition_subalgoE9EllbEEZZNS1_14partition_implILS5_9ELb0ES3_jPKlN6thrust23THRUST_200600_302600_NS17counting_iteratorIlNSB_11use_defaultESD_SD_EEPNS0_10empty_typeENS0_5tupleIJPlSF_EEENSH_IJSI_SG_EEENS0_18inequality_wrapperIN6hipcub16HIPCUB_304000_NS8EqualityEEESI_JSF_EEE10hipError_tPvRmT3_T4_T5_T6_T7_T9_mT8_P12ihipStream_tbDpT10_ENKUlT_T0_E_clISt17integral_constantIbLb0EES19_EEDaS14_S15_EUlS14_E_NS1_11comp_targetILNS1_3genE10ELNS1_11target_archE1200ELNS1_3gpuE4ELNS1_3repE0EEENS1_30default_config_static_selectorELNS0_4arch9wavefront6targetE1EEEvT1_.kd
    .uniform_work_group_size: 1
    .uses_dynamic_stack: false
    .vgpr_count:     0
    .vgpr_spill_count: 0
    .wavefront_size: 64
  - .agpr_count:     0
    .args:
      - .offset:         0
        .size:           112
        .value_kind:     by_value
    .group_segment_fixed_size: 0
    .kernarg_segment_align: 8
    .kernarg_segment_size: 112
    .language:       OpenCL C
    .language_version:
      - 2
      - 0
    .max_flat_workgroup_size: 512
    .name:           _ZN7rocprim17ROCPRIM_400000_NS6detail17trampoline_kernelINS0_14default_configENS1_25partition_config_selectorILNS1_17partition_subalgoE9EllbEEZZNS1_14partition_implILS5_9ELb0ES3_jPKlN6thrust23THRUST_200600_302600_NS17counting_iteratorIlNSB_11use_defaultESD_SD_EEPNS0_10empty_typeENS0_5tupleIJPlSF_EEENSH_IJSI_SG_EEENS0_18inequality_wrapperIN6hipcub16HIPCUB_304000_NS8EqualityEEESI_JSF_EEE10hipError_tPvRmT3_T4_T5_T6_T7_T9_mT8_P12ihipStream_tbDpT10_ENKUlT_T0_E_clISt17integral_constantIbLb0EES19_EEDaS14_S15_EUlS14_E_NS1_11comp_targetILNS1_3genE9ELNS1_11target_archE1100ELNS1_3gpuE3ELNS1_3repE0EEENS1_30default_config_static_selectorELNS0_4arch9wavefront6targetE1EEEvT1_
    .private_segment_fixed_size: 0
    .sgpr_count:     4
    .sgpr_spill_count: 0
    .symbol:         _ZN7rocprim17ROCPRIM_400000_NS6detail17trampoline_kernelINS0_14default_configENS1_25partition_config_selectorILNS1_17partition_subalgoE9EllbEEZZNS1_14partition_implILS5_9ELb0ES3_jPKlN6thrust23THRUST_200600_302600_NS17counting_iteratorIlNSB_11use_defaultESD_SD_EEPNS0_10empty_typeENS0_5tupleIJPlSF_EEENSH_IJSI_SG_EEENS0_18inequality_wrapperIN6hipcub16HIPCUB_304000_NS8EqualityEEESI_JSF_EEE10hipError_tPvRmT3_T4_T5_T6_T7_T9_mT8_P12ihipStream_tbDpT10_ENKUlT_T0_E_clISt17integral_constantIbLb0EES19_EEDaS14_S15_EUlS14_E_NS1_11comp_targetILNS1_3genE9ELNS1_11target_archE1100ELNS1_3gpuE3ELNS1_3repE0EEENS1_30default_config_static_selectorELNS0_4arch9wavefront6targetE1EEEvT1_.kd
    .uniform_work_group_size: 1
    .uses_dynamic_stack: false
    .vgpr_count:     0
    .vgpr_spill_count: 0
    .wavefront_size: 64
  - .agpr_count:     0
    .args:
      - .offset:         0
        .size:           112
        .value_kind:     by_value
    .group_segment_fixed_size: 0
    .kernarg_segment_align: 8
    .kernarg_segment_size: 112
    .language:       OpenCL C
    .language_version:
      - 2
      - 0
    .max_flat_workgroup_size: 512
    .name:           _ZN7rocprim17ROCPRIM_400000_NS6detail17trampoline_kernelINS0_14default_configENS1_25partition_config_selectorILNS1_17partition_subalgoE9EllbEEZZNS1_14partition_implILS5_9ELb0ES3_jPKlN6thrust23THRUST_200600_302600_NS17counting_iteratorIlNSB_11use_defaultESD_SD_EEPNS0_10empty_typeENS0_5tupleIJPlSF_EEENSH_IJSI_SG_EEENS0_18inequality_wrapperIN6hipcub16HIPCUB_304000_NS8EqualityEEESI_JSF_EEE10hipError_tPvRmT3_T4_T5_T6_T7_T9_mT8_P12ihipStream_tbDpT10_ENKUlT_T0_E_clISt17integral_constantIbLb0EES19_EEDaS14_S15_EUlS14_E_NS1_11comp_targetILNS1_3genE8ELNS1_11target_archE1030ELNS1_3gpuE2ELNS1_3repE0EEENS1_30default_config_static_selectorELNS0_4arch9wavefront6targetE1EEEvT1_
    .private_segment_fixed_size: 0
    .sgpr_count:     4
    .sgpr_spill_count: 0
    .symbol:         _ZN7rocprim17ROCPRIM_400000_NS6detail17trampoline_kernelINS0_14default_configENS1_25partition_config_selectorILNS1_17partition_subalgoE9EllbEEZZNS1_14partition_implILS5_9ELb0ES3_jPKlN6thrust23THRUST_200600_302600_NS17counting_iteratorIlNSB_11use_defaultESD_SD_EEPNS0_10empty_typeENS0_5tupleIJPlSF_EEENSH_IJSI_SG_EEENS0_18inequality_wrapperIN6hipcub16HIPCUB_304000_NS8EqualityEEESI_JSF_EEE10hipError_tPvRmT3_T4_T5_T6_T7_T9_mT8_P12ihipStream_tbDpT10_ENKUlT_T0_E_clISt17integral_constantIbLb0EES19_EEDaS14_S15_EUlS14_E_NS1_11comp_targetILNS1_3genE8ELNS1_11target_archE1030ELNS1_3gpuE2ELNS1_3repE0EEENS1_30default_config_static_selectorELNS0_4arch9wavefront6targetE1EEEvT1_.kd
    .uniform_work_group_size: 1
    .uses_dynamic_stack: false
    .vgpr_count:     0
    .vgpr_spill_count: 0
    .wavefront_size: 64
  - .agpr_count:     0
    .args:
      - .offset:         0
        .size:           128
        .value_kind:     by_value
    .group_segment_fixed_size: 0
    .kernarg_segment_align: 8
    .kernarg_segment_size: 128
    .language:       OpenCL C
    .language_version:
      - 2
      - 0
    .max_flat_workgroup_size: 128
    .name:           _ZN7rocprim17ROCPRIM_400000_NS6detail17trampoline_kernelINS0_14default_configENS1_25partition_config_selectorILNS1_17partition_subalgoE9EllbEEZZNS1_14partition_implILS5_9ELb0ES3_jPKlN6thrust23THRUST_200600_302600_NS17counting_iteratorIlNSB_11use_defaultESD_SD_EEPNS0_10empty_typeENS0_5tupleIJPlSF_EEENSH_IJSI_SG_EEENS0_18inequality_wrapperIN6hipcub16HIPCUB_304000_NS8EqualityEEESI_JSF_EEE10hipError_tPvRmT3_T4_T5_T6_T7_T9_mT8_P12ihipStream_tbDpT10_ENKUlT_T0_E_clISt17integral_constantIbLb1EES19_EEDaS14_S15_EUlS14_E_NS1_11comp_targetILNS1_3genE0ELNS1_11target_archE4294967295ELNS1_3gpuE0ELNS1_3repE0EEENS1_30default_config_static_selectorELNS0_4arch9wavefront6targetE1EEEvT1_
    .private_segment_fixed_size: 0
    .sgpr_count:     4
    .sgpr_spill_count: 0
    .symbol:         _ZN7rocprim17ROCPRIM_400000_NS6detail17trampoline_kernelINS0_14default_configENS1_25partition_config_selectorILNS1_17partition_subalgoE9EllbEEZZNS1_14partition_implILS5_9ELb0ES3_jPKlN6thrust23THRUST_200600_302600_NS17counting_iteratorIlNSB_11use_defaultESD_SD_EEPNS0_10empty_typeENS0_5tupleIJPlSF_EEENSH_IJSI_SG_EEENS0_18inequality_wrapperIN6hipcub16HIPCUB_304000_NS8EqualityEEESI_JSF_EEE10hipError_tPvRmT3_T4_T5_T6_T7_T9_mT8_P12ihipStream_tbDpT10_ENKUlT_T0_E_clISt17integral_constantIbLb1EES19_EEDaS14_S15_EUlS14_E_NS1_11comp_targetILNS1_3genE0ELNS1_11target_archE4294967295ELNS1_3gpuE0ELNS1_3repE0EEENS1_30default_config_static_selectorELNS0_4arch9wavefront6targetE1EEEvT1_.kd
    .uniform_work_group_size: 1
    .uses_dynamic_stack: false
    .vgpr_count:     0
    .vgpr_spill_count: 0
    .wavefront_size: 64
  - .agpr_count:     0
    .args:
      - .offset:         0
        .size:           128
        .value_kind:     by_value
    .group_segment_fixed_size: 0
    .kernarg_segment_align: 8
    .kernarg_segment_size: 128
    .language:       OpenCL C
    .language_version:
      - 2
      - 0
    .max_flat_workgroup_size: 512
    .name:           _ZN7rocprim17ROCPRIM_400000_NS6detail17trampoline_kernelINS0_14default_configENS1_25partition_config_selectorILNS1_17partition_subalgoE9EllbEEZZNS1_14partition_implILS5_9ELb0ES3_jPKlN6thrust23THRUST_200600_302600_NS17counting_iteratorIlNSB_11use_defaultESD_SD_EEPNS0_10empty_typeENS0_5tupleIJPlSF_EEENSH_IJSI_SG_EEENS0_18inequality_wrapperIN6hipcub16HIPCUB_304000_NS8EqualityEEESI_JSF_EEE10hipError_tPvRmT3_T4_T5_T6_T7_T9_mT8_P12ihipStream_tbDpT10_ENKUlT_T0_E_clISt17integral_constantIbLb1EES19_EEDaS14_S15_EUlS14_E_NS1_11comp_targetILNS1_3genE5ELNS1_11target_archE942ELNS1_3gpuE9ELNS1_3repE0EEENS1_30default_config_static_selectorELNS0_4arch9wavefront6targetE1EEEvT1_
    .private_segment_fixed_size: 0
    .sgpr_count:     4
    .sgpr_spill_count: 0
    .symbol:         _ZN7rocprim17ROCPRIM_400000_NS6detail17trampoline_kernelINS0_14default_configENS1_25partition_config_selectorILNS1_17partition_subalgoE9EllbEEZZNS1_14partition_implILS5_9ELb0ES3_jPKlN6thrust23THRUST_200600_302600_NS17counting_iteratorIlNSB_11use_defaultESD_SD_EEPNS0_10empty_typeENS0_5tupleIJPlSF_EEENSH_IJSI_SG_EEENS0_18inequality_wrapperIN6hipcub16HIPCUB_304000_NS8EqualityEEESI_JSF_EEE10hipError_tPvRmT3_T4_T5_T6_T7_T9_mT8_P12ihipStream_tbDpT10_ENKUlT_T0_E_clISt17integral_constantIbLb1EES19_EEDaS14_S15_EUlS14_E_NS1_11comp_targetILNS1_3genE5ELNS1_11target_archE942ELNS1_3gpuE9ELNS1_3repE0EEENS1_30default_config_static_selectorELNS0_4arch9wavefront6targetE1EEEvT1_.kd
    .uniform_work_group_size: 1
    .uses_dynamic_stack: false
    .vgpr_count:     0
    .vgpr_spill_count: 0
    .wavefront_size: 64
  - .agpr_count:     0
    .args:
      - .offset:         0
        .size:           128
        .value_kind:     by_value
    .group_segment_fixed_size: 4232
    .kernarg_segment_align: 8
    .kernarg_segment_size: 128
    .language:       OpenCL C
    .language_version:
      - 2
      - 0
    .max_flat_workgroup_size: 128
    .name:           _ZN7rocprim17ROCPRIM_400000_NS6detail17trampoline_kernelINS0_14default_configENS1_25partition_config_selectorILNS1_17partition_subalgoE9EllbEEZZNS1_14partition_implILS5_9ELb0ES3_jPKlN6thrust23THRUST_200600_302600_NS17counting_iteratorIlNSB_11use_defaultESD_SD_EEPNS0_10empty_typeENS0_5tupleIJPlSF_EEENSH_IJSI_SG_EEENS0_18inequality_wrapperIN6hipcub16HIPCUB_304000_NS8EqualityEEESI_JSF_EEE10hipError_tPvRmT3_T4_T5_T6_T7_T9_mT8_P12ihipStream_tbDpT10_ENKUlT_T0_E_clISt17integral_constantIbLb1EES19_EEDaS14_S15_EUlS14_E_NS1_11comp_targetILNS1_3genE4ELNS1_11target_archE910ELNS1_3gpuE8ELNS1_3repE0EEENS1_30default_config_static_selectorELNS0_4arch9wavefront6targetE1EEEvT1_
    .private_segment_fixed_size: 0
    .sgpr_count:     48
    .sgpr_spill_count: 0
    .symbol:         _ZN7rocprim17ROCPRIM_400000_NS6detail17trampoline_kernelINS0_14default_configENS1_25partition_config_selectorILNS1_17partition_subalgoE9EllbEEZZNS1_14partition_implILS5_9ELb0ES3_jPKlN6thrust23THRUST_200600_302600_NS17counting_iteratorIlNSB_11use_defaultESD_SD_EEPNS0_10empty_typeENS0_5tupleIJPlSF_EEENSH_IJSI_SG_EEENS0_18inequality_wrapperIN6hipcub16HIPCUB_304000_NS8EqualityEEESI_JSF_EEE10hipError_tPvRmT3_T4_T5_T6_T7_T9_mT8_P12ihipStream_tbDpT10_ENKUlT_T0_E_clISt17integral_constantIbLb1EES19_EEDaS14_S15_EUlS14_E_NS1_11comp_targetILNS1_3genE4ELNS1_11target_archE910ELNS1_3gpuE8ELNS1_3repE0EEENS1_30default_config_static_selectorELNS0_4arch9wavefront6targetE1EEEvT1_.kd
    .uniform_work_group_size: 1
    .uses_dynamic_stack: false
    .vgpr_count:     50
    .vgpr_spill_count: 0
    .wavefront_size: 64
  - .agpr_count:     0
    .args:
      - .offset:         0
        .size:           128
        .value_kind:     by_value
    .group_segment_fixed_size: 0
    .kernarg_segment_align: 8
    .kernarg_segment_size: 128
    .language:       OpenCL C
    .language_version:
      - 2
      - 0
    .max_flat_workgroup_size: 128
    .name:           _ZN7rocprim17ROCPRIM_400000_NS6detail17trampoline_kernelINS0_14default_configENS1_25partition_config_selectorILNS1_17partition_subalgoE9EllbEEZZNS1_14partition_implILS5_9ELb0ES3_jPKlN6thrust23THRUST_200600_302600_NS17counting_iteratorIlNSB_11use_defaultESD_SD_EEPNS0_10empty_typeENS0_5tupleIJPlSF_EEENSH_IJSI_SG_EEENS0_18inequality_wrapperIN6hipcub16HIPCUB_304000_NS8EqualityEEESI_JSF_EEE10hipError_tPvRmT3_T4_T5_T6_T7_T9_mT8_P12ihipStream_tbDpT10_ENKUlT_T0_E_clISt17integral_constantIbLb1EES19_EEDaS14_S15_EUlS14_E_NS1_11comp_targetILNS1_3genE3ELNS1_11target_archE908ELNS1_3gpuE7ELNS1_3repE0EEENS1_30default_config_static_selectorELNS0_4arch9wavefront6targetE1EEEvT1_
    .private_segment_fixed_size: 0
    .sgpr_count:     4
    .sgpr_spill_count: 0
    .symbol:         _ZN7rocprim17ROCPRIM_400000_NS6detail17trampoline_kernelINS0_14default_configENS1_25partition_config_selectorILNS1_17partition_subalgoE9EllbEEZZNS1_14partition_implILS5_9ELb0ES3_jPKlN6thrust23THRUST_200600_302600_NS17counting_iteratorIlNSB_11use_defaultESD_SD_EEPNS0_10empty_typeENS0_5tupleIJPlSF_EEENSH_IJSI_SG_EEENS0_18inequality_wrapperIN6hipcub16HIPCUB_304000_NS8EqualityEEESI_JSF_EEE10hipError_tPvRmT3_T4_T5_T6_T7_T9_mT8_P12ihipStream_tbDpT10_ENKUlT_T0_E_clISt17integral_constantIbLb1EES19_EEDaS14_S15_EUlS14_E_NS1_11comp_targetILNS1_3genE3ELNS1_11target_archE908ELNS1_3gpuE7ELNS1_3repE0EEENS1_30default_config_static_selectorELNS0_4arch9wavefront6targetE1EEEvT1_.kd
    .uniform_work_group_size: 1
    .uses_dynamic_stack: false
    .vgpr_count:     0
    .vgpr_spill_count: 0
    .wavefront_size: 64
  - .agpr_count:     0
    .args:
      - .offset:         0
        .size:           128
        .value_kind:     by_value
    .group_segment_fixed_size: 0
    .kernarg_segment_align: 8
    .kernarg_segment_size: 128
    .language:       OpenCL C
    .language_version:
      - 2
      - 0
    .max_flat_workgroup_size: 192
    .name:           _ZN7rocprim17ROCPRIM_400000_NS6detail17trampoline_kernelINS0_14default_configENS1_25partition_config_selectorILNS1_17partition_subalgoE9EllbEEZZNS1_14partition_implILS5_9ELb0ES3_jPKlN6thrust23THRUST_200600_302600_NS17counting_iteratorIlNSB_11use_defaultESD_SD_EEPNS0_10empty_typeENS0_5tupleIJPlSF_EEENSH_IJSI_SG_EEENS0_18inequality_wrapperIN6hipcub16HIPCUB_304000_NS8EqualityEEESI_JSF_EEE10hipError_tPvRmT3_T4_T5_T6_T7_T9_mT8_P12ihipStream_tbDpT10_ENKUlT_T0_E_clISt17integral_constantIbLb1EES19_EEDaS14_S15_EUlS14_E_NS1_11comp_targetILNS1_3genE2ELNS1_11target_archE906ELNS1_3gpuE6ELNS1_3repE0EEENS1_30default_config_static_selectorELNS0_4arch9wavefront6targetE1EEEvT1_
    .private_segment_fixed_size: 0
    .sgpr_count:     4
    .sgpr_spill_count: 0
    .symbol:         _ZN7rocprim17ROCPRIM_400000_NS6detail17trampoline_kernelINS0_14default_configENS1_25partition_config_selectorILNS1_17partition_subalgoE9EllbEEZZNS1_14partition_implILS5_9ELb0ES3_jPKlN6thrust23THRUST_200600_302600_NS17counting_iteratorIlNSB_11use_defaultESD_SD_EEPNS0_10empty_typeENS0_5tupleIJPlSF_EEENSH_IJSI_SG_EEENS0_18inequality_wrapperIN6hipcub16HIPCUB_304000_NS8EqualityEEESI_JSF_EEE10hipError_tPvRmT3_T4_T5_T6_T7_T9_mT8_P12ihipStream_tbDpT10_ENKUlT_T0_E_clISt17integral_constantIbLb1EES19_EEDaS14_S15_EUlS14_E_NS1_11comp_targetILNS1_3genE2ELNS1_11target_archE906ELNS1_3gpuE6ELNS1_3repE0EEENS1_30default_config_static_selectorELNS0_4arch9wavefront6targetE1EEEvT1_.kd
    .uniform_work_group_size: 1
    .uses_dynamic_stack: false
    .vgpr_count:     0
    .vgpr_spill_count: 0
    .wavefront_size: 64
  - .agpr_count:     0
    .args:
      - .offset:         0
        .size:           128
        .value_kind:     by_value
    .group_segment_fixed_size: 0
    .kernarg_segment_align: 8
    .kernarg_segment_size: 128
    .language:       OpenCL C
    .language_version:
      - 2
      - 0
    .max_flat_workgroup_size: 384
    .name:           _ZN7rocprim17ROCPRIM_400000_NS6detail17trampoline_kernelINS0_14default_configENS1_25partition_config_selectorILNS1_17partition_subalgoE9EllbEEZZNS1_14partition_implILS5_9ELb0ES3_jPKlN6thrust23THRUST_200600_302600_NS17counting_iteratorIlNSB_11use_defaultESD_SD_EEPNS0_10empty_typeENS0_5tupleIJPlSF_EEENSH_IJSI_SG_EEENS0_18inequality_wrapperIN6hipcub16HIPCUB_304000_NS8EqualityEEESI_JSF_EEE10hipError_tPvRmT3_T4_T5_T6_T7_T9_mT8_P12ihipStream_tbDpT10_ENKUlT_T0_E_clISt17integral_constantIbLb1EES19_EEDaS14_S15_EUlS14_E_NS1_11comp_targetILNS1_3genE10ELNS1_11target_archE1200ELNS1_3gpuE4ELNS1_3repE0EEENS1_30default_config_static_selectorELNS0_4arch9wavefront6targetE1EEEvT1_
    .private_segment_fixed_size: 0
    .sgpr_count:     4
    .sgpr_spill_count: 0
    .symbol:         _ZN7rocprim17ROCPRIM_400000_NS6detail17trampoline_kernelINS0_14default_configENS1_25partition_config_selectorILNS1_17partition_subalgoE9EllbEEZZNS1_14partition_implILS5_9ELb0ES3_jPKlN6thrust23THRUST_200600_302600_NS17counting_iteratorIlNSB_11use_defaultESD_SD_EEPNS0_10empty_typeENS0_5tupleIJPlSF_EEENSH_IJSI_SG_EEENS0_18inequality_wrapperIN6hipcub16HIPCUB_304000_NS8EqualityEEESI_JSF_EEE10hipError_tPvRmT3_T4_T5_T6_T7_T9_mT8_P12ihipStream_tbDpT10_ENKUlT_T0_E_clISt17integral_constantIbLb1EES19_EEDaS14_S15_EUlS14_E_NS1_11comp_targetILNS1_3genE10ELNS1_11target_archE1200ELNS1_3gpuE4ELNS1_3repE0EEENS1_30default_config_static_selectorELNS0_4arch9wavefront6targetE1EEEvT1_.kd
    .uniform_work_group_size: 1
    .uses_dynamic_stack: false
    .vgpr_count:     0
    .vgpr_spill_count: 0
    .wavefront_size: 64
  - .agpr_count:     0
    .args:
      - .offset:         0
        .size:           128
        .value_kind:     by_value
    .group_segment_fixed_size: 0
    .kernarg_segment_align: 8
    .kernarg_segment_size: 128
    .language:       OpenCL C
    .language_version:
      - 2
      - 0
    .max_flat_workgroup_size: 512
    .name:           _ZN7rocprim17ROCPRIM_400000_NS6detail17trampoline_kernelINS0_14default_configENS1_25partition_config_selectorILNS1_17partition_subalgoE9EllbEEZZNS1_14partition_implILS5_9ELb0ES3_jPKlN6thrust23THRUST_200600_302600_NS17counting_iteratorIlNSB_11use_defaultESD_SD_EEPNS0_10empty_typeENS0_5tupleIJPlSF_EEENSH_IJSI_SG_EEENS0_18inequality_wrapperIN6hipcub16HIPCUB_304000_NS8EqualityEEESI_JSF_EEE10hipError_tPvRmT3_T4_T5_T6_T7_T9_mT8_P12ihipStream_tbDpT10_ENKUlT_T0_E_clISt17integral_constantIbLb1EES19_EEDaS14_S15_EUlS14_E_NS1_11comp_targetILNS1_3genE9ELNS1_11target_archE1100ELNS1_3gpuE3ELNS1_3repE0EEENS1_30default_config_static_selectorELNS0_4arch9wavefront6targetE1EEEvT1_
    .private_segment_fixed_size: 0
    .sgpr_count:     4
    .sgpr_spill_count: 0
    .symbol:         _ZN7rocprim17ROCPRIM_400000_NS6detail17trampoline_kernelINS0_14default_configENS1_25partition_config_selectorILNS1_17partition_subalgoE9EllbEEZZNS1_14partition_implILS5_9ELb0ES3_jPKlN6thrust23THRUST_200600_302600_NS17counting_iteratorIlNSB_11use_defaultESD_SD_EEPNS0_10empty_typeENS0_5tupleIJPlSF_EEENSH_IJSI_SG_EEENS0_18inequality_wrapperIN6hipcub16HIPCUB_304000_NS8EqualityEEESI_JSF_EEE10hipError_tPvRmT3_T4_T5_T6_T7_T9_mT8_P12ihipStream_tbDpT10_ENKUlT_T0_E_clISt17integral_constantIbLb1EES19_EEDaS14_S15_EUlS14_E_NS1_11comp_targetILNS1_3genE9ELNS1_11target_archE1100ELNS1_3gpuE3ELNS1_3repE0EEENS1_30default_config_static_selectorELNS0_4arch9wavefront6targetE1EEEvT1_.kd
    .uniform_work_group_size: 1
    .uses_dynamic_stack: false
    .vgpr_count:     0
    .vgpr_spill_count: 0
    .wavefront_size: 64
  - .agpr_count:     0
    .args:
      - .offset:         0
        .size:           128
        .value_kind:     by_value
    .group_segment_fixed_size: 0
    .kernarg_segment_align: 8
    .kernarg_segment_size: 128
    .language:       OpenCL C
    .language_version:
      - 2
      - 0
    .max_flat_workgroup_size: 512
    .name:           _ZN7rocprim17ROCPRIM_400000_NS6detail17trampoline_kernelINS0_14default_configENS1_25partition_config_selectorILNS1_17partition_subalgoE9EllbEEZZNS1_14partition_implILS5_9ELb0ES3_jPKlN6thrust23THRUST_200600_302600_NS17counting_iteratorIlNSB_11use_defaultESD_SD_EEPNS0_10empty_typeENS0_5tupleIJPlSF_EEENSH_IJSI_SG_EEENS0_18inequality_wrapperIN6hipcub16HIPCUB_304000_NS8EqualityEEESI_JSF_EEE10hipError_tPvRmT3_T4_T5_T6_T7_T9_mT8_P12ihipStream_tbDpT10_ENKUlT_T0_E_clISt17integral_constantIbLb1EES19_EEDaS14_S15_EUlS14_E_NS1_11comp_targetILNS1_3genE8ELNS1_11target_archE1030ELNS1_3gpuE2ELNS1_3repE0EEENS1_30default_config_static_selectorELNS0_4arch9wavefront6targetE1EEEvT1_
    .private_segment_fixed_size: 0
    .sgpr_count:     4
    .sgpr_spill_count: 0
    .symbol:         _ZN7rocprim17ROCPRIM_400000_NS6detail17trampoline_kernelINS0_14default_configENS1_25partition_config_selectorILNS1_17partition_subalgoE9EllbEEZZNS1_14partition_implILS5_9ELb0ES3_jPKlN6thrust23THRUST_200600_302600_NS17counting_iteratorIlNSB_11use_defaultESD_SD_EEPNS0_10empty_typeENS0_5tupleIJPlSF_EEENSH_IJSI_SG_EEENS0_18inequality_wrapperIN6hipcub16HIPCUB_304000_NS8EqualityEEESI_JSF_EEE10hipError_tPvRmT3_T4_T5_T6_T7_T9_mT8_P12ihipStream_tbDpT10_ENKUlT_T0_E_clISt17integral_constantIbLb1EES19_EEDaS14_S15_EUlS14_E_NS1_11comp_targetILNS1_3genE8ELNS1_11target_archE1030ELNS1_3gpuE2ELNS1_3repE0EEENS1_30default_config_static_selectorELNS0_4arch9wavefront6targetE1EEEvT1_.kd
    .uniform_work_group_size: 1
    .uses_dynamic_stack: false
    .vgpr_count:     0
    .vgpr_spill_count: 0
    .wavefront_size: 64
  - .agpr_count:     0
    .args:
      - .offset:         0
        .size:           112
        .value_kind:     by_value
    .group_segment_fixed_size: 0
    .kernarg_segment_align: 8
    .kernarg_segment_size: 112
    .language:       OpenCL C
    .language_version:
      - 2
      - 0
    .max_flat_workgroup_size: 128
    .name:           _ZN7rocprim17ROCPRIM_400000_NS6detail17trampoline_kernelINS0_14default_configENS1_25partition_config_selectorILNS1_17partition_subalgoE9EllbEEZZNS1_14partition_implILS5_9ELb0ES3_jPKlN6thrust23THRUST_200600_302600_NS17counting_iteratorIlNSB_11use_defaultESD_SD_EEPNS0_10empty_typeENS0_5tupleIJPlSF_EEENSH_IJSI_SG_EEENS0_18inequality_wrapperIN6hipcub16HIPCUB_304000_NS8EqualityEEESI_JSF_EEE10hipError_tPvRmT3_T4_T5_T6_T7_T9_mT8_P12ihipStream_tbDpT10_ENKUlT_T0_E_clISt17integral_constantIbLb1EES18_IbLb0EEEEDaS14_S15_EUlS14_E_NS1_11comp_targetILNS1_3genE0ELNS1_11target_archE4294967295ELNS1_3gpuE0ELNS1_3repE0EEENS1_30default_config_static_selectorELNS0_4arch9wavefront6targetE1EEEvT1_
    .private_segment_fixed_size: 0
    .sgpr_count:     4
    .sgpr_spill_count: 0
    .symbol:         _ZN7rocprim17ROCPRIM_400000_NS6detail17trampoline_kernelINS0_14default_configENS1_25partition_config_selectorILNS1_17partition_subalgoE9EllbEEZZNS1_14partition_implILS5_9ELb0ES3_jPKlN6thrust23THRUST_200600_302600_NS17counting_iteratorIlNSB_11use_defaultESD_SD_EEPNS0_10empty_typeENS0_5tupleIJPlSF_EEENSH_IJSI_SG_EEENS0_18inequality_wrapperIN6hipcub16HIPCUB_304000_NS8EqualityEEESI_JSF_EEE10hipError_tPvRmT3_T4_T5_T6_T7_T9_mT8_P12ihipStream_tbDpT10_ENKUlT_T0_E_clISt17integral_constantIbLb1EES18_IbLb0EEEEDaS14_S15_EUlS14_E_NS1_11comp_targetILNS1_3genE0ELNS1_11target_archE4294967295ELNS1_3gpuE0ELNS1_3repE0EEENS1_30default_config_static_selectorELNS0_4arch9wavefront6targetE1EEEvT1_.kd
    .uniform_work_group_size: 1
    .uses_dynamic_stack: false
    .vgpr_count:     0
    .vgpr_spill_count: 0
    .wavefront_size: 64
  - .agpr_count:     0
    .args:
      - .offset:         0
        .size:           112
        .value_kind:     by_value
    .group_segment_fixed_size: 0
    .kernarg_segment_align: 8
    .kernarg_segment_size: 112
    .language:       OpenCL C
    .language_version:
      - 2
      - 0
    .max_flat_workgroup_size: 512
    .name:           _ZN7rocprim17ROCPRIM_400000_NS6detail17trampoline_kernelINS0_14default_configENS1_25partition_config_selectorILNS1_17partition_subalgoE9EllbEEZZNS1_14partition_implILS5_9ELb0ES3_jPKlN6thrust23THRUST_200600_302600_NS17counting_iteratorIlNSB_11use_defaultESD_SD_EEPNS0_10empty_typeENS0_5tupleIJPlSF_EEENSH_IJSI_SG_EEENS0_18inequality_wrapperIN6hipcub16HIPCUB_304000_NS8EqualityEEESI_JSF_EEE10hipError_tPvRmT3_T4_T5_T6_T7_T9_mT8_P12ihipStream_tbDpT10_ENKUlT_T0_E_clISt17integral_constantIbLb1EES18_IbLb0EEEEDaS14_S15_EUlS14_E_NS1_11comp_targetILNS1_3genE5ELNS1_11target_archE942ELNS1_3gpuE9ELNS1_3repE0EEENS1_30default_config_static_selectorELNS0_4arch9wavefront6targetE1EEEvT1_
    .private_segment_fixed_size: 0
    .sgpr_count:     4
    .sgpr_spill_count: 0
    .symbol:         _ZN7rocprim17ROCPRIM_400000_NS6detail17trampoline_kernelINS0_14default_configENS1_25partition_config_selectorILNS1_17partition_subalgoE9EllbEEZZNS1_14partition_implILS5_9ELb0ES3_jPKlN6thrust23THRUST_200600_302600_NS17counting_iteratorIlNSB_11use_defaultESD_SD_EEPNS0_10empty_typeENS0_5tupleIJPlSF_EEENSH_IJSI_SG_EEENS0_18inequality_wrapperIN6hipcub16HIPCUB_304000_NS8EqualityEEESI_JSF_EEE10hipError_tPvRmT3_T4_T5_T6_T7_T9_mT8_P12ihipStream_tbDpT10_ENKUlT_T0_E_clISt17integral_constantIbLb1EES18_IbLb0EEEEDaS14_S15_EUlS14_E_NS1_11comp_targetILNS1_3genE5ELNS1_11target_archE942ELNS1_3gpuE9ELNS1_3repE0EEENS1_30default_config_static_selectorELNS0_4arch9wavefront6targetE1EEEvT1_.kd
    .uniform_work_group_size: 1
    .uses_dynamic_stack: false
    .vgpr_count:     0
    .vgpr_spill_count: 0
    .wavefront_size: 64
  - .agpr_count:     0
    .args:
      - .offset:         0
        .size:           112
        .value_kind:     by_value
    .group_segment_fixed_size: 4232
    .kernarg_segment_align: 8
    .kernarg_segment_size: 112
    .language:       OpenCL C
    .language_version:
      - 2
      - 0
    .max_flat_workgroup_size: 128
    .name:           _ZN7rocprim17ROCPRIM_400000_NS6detail17trampoline_kernelINS0_14default_configENS1_25partition_config_selectorILNS1_17partition_subalgoE9EllbEEZZNS1_14partition_implILS5_9ELb0ES3_jPKlN6thrust23THRUST_200600_302600_NS17counting_iteratorIlNSB_11use_defaultESD_SD_EEPNS0_10empty_typeENS0_5tupleIJPlSF_EEENSH_IJSI_SG_EEENS0_18inequality_wrapperIN6hipcub16HIPCUB_304000_NS8EqualityEEESI_JSF_EEE10hipError_tPvRmT3_T4_T5_T6_T7_T9_mT8_P12ihipStream_tbDpT10_ENKUlT_T0_E_clISt17integral_constantIbLb1EES18_IbLb0EEEEDaS14_S15_EUlS14_E_NS1_11comp_targetILNS1_3genE4ELNS1_11target_archE910ELNS1_3gpuE8ELNS1_3repE0EEENS1_30default_config_static_selectorELNS0_4arch9wavefront6targetE1EEEvT1_
    .private_segment_fixed_size: 0
    .sgpr_count:     46
    .sgpr_spill_count: 0
    .symbol:         _ZN7rocprim17ROCPRIM_400000_NS6detail17trampoline_kernelINS0_14default_configENS1_25partition_config_selectorILNS1_17partition_subalgoE9EllbEEZZNS1_14partition_implILS5_9ELb0ES3_jPKlN6thrust23THRUST_200600_302600_NS17counting_iteratorIlNSB_11use_defaultESD_SD_EEPNS0_10empty_typeENS0_5tupleIJPlSF_EEENSH_IJSI_SG_EEENS0_18inequality_wrapperIN6hipcub16HIPCUB_304000_NS8EqualityEEESI_JSF_EEE10hipError_tPvRmT3_T4_T5_T6_T7_T9_mT8_P12ihipStream_tbDpT10_ENKUlT_T0_E_clISt17integral_constantIbLb1EES18_IbLb0EEEEDaS14_S15_EUlS14_E_NS1_11comp_targetILNS1_3genE4ELNS1_11target_archE910ELNS1_3gpuE8ELNS1_3repE0EEENS1_30default_config_static_selectorELNS0_4arch9wavefront6targetE1EEEvT1_.kd
    .uniform_work_group_size: 1
    .uses_dynamic_stack: false
    .vgpr_count:     50
    .vgpr_spill_count: 0
    .wavefront_size: 64
  - .agpr_count:     0
    .args:
      - .offset:         0
        .size:           112
        .value_kind:     by_value
    .group_segment_fixed_size: 0
    .kernarg_segment_align: 8
    .kernarg_segment_size: 112
    .language:       OpenCL C
    .language_version:
      - 2
      - 0
    .max_flat_workgroup_size: 128
    .name:           _ZN7rocprim17ROCPRIM_400000_NS6detail17trampoline_kernelINS0_14default_configENS1_25partition_config_selectorILNS1_17partition_subalgoE9EllbEEZZNS1_14partition_implILS5_9ELb0ES3_jPKlN6thrust23THRUST_200600_302600_NS17counting_iteratorIlNSB_11use_defaultESD_SD_EEPNS0_10empty_typeENS0_5tupleIJPlSF_EEENSH_IJSI_SG_EEENS0_18inequality_wrapperIN6hipcub16HIPCUB_304000_NS8EqualityEEESI_JSF_EEE10hipError_tPvRmT3_T4_T5_T6_T7_T9_mT8_P12ihipStream_tbDpT10_ENKUlT_T0_E_clISt17integral_constantIbLb1EES18_IbLb0EEEEDaS14_S15_EUlS14_E_NS1_11comp_targetILNS1_3genE3ELNS1_11target_archE908ELNS1_3gpuE7ELNS1_3repE0EEENS1_30default_config_static_selectorELNS0_4arch9wavefront6targetE1EEEvT1_
    .private_segment_fixed_size: 0
    .sgpr_count:     4
    .sgpr_spill_count: 0
    .symbol:         _ZN7rocprim17ROCPRIM_400000_NS6detail17trampoline_kernelINS0_14default_configENS1_25partition_config_selectorILNS1_17partition_subalgoE9EllbEEZZNS1_14partition_implILS5_9ELb0ES3_jPKlN6thrust23THRUST_200600_302600_NS17counting_iteratorIlNSB_11use_defaultESD_SD_EEPNS0_10empty_typeENS0_5tupleIJPlSF_EEENSH_IJSI_SG_EEENS0_18inequality_wrapperIN6hipcub16HIPCUB_304000_NS8EqualityEEESI_JSF_EEE10hipError_tPvRmT3_T4_T5_T6_T7_T9_mT8_P12ihipStream_tbDpT10_ENKUlT_T0_E_clISt17integral_constantIbLb1EES18_IbLb0EEEEDaS14_S15_EUlS14_E_NS1_11comp_targetILNS1_3genE3ELNS1_11target_archE908ELNS1_3gpuE7ELNS1_3repE0EEENS1_30default_config_static_selectorELNS0_4arch9wavefront6targetE1EEEvT1_.kd
    .uniform_work_group_size: 1
    .uses_dynamic_stack: false
    .vgpr_count:     0
    .vgpr_spill_count: 0
    .wavefront_size: 64
  - .agpr_count:     0
    .args:
      - .offset:         0
        .size:           112
        .value_kind:     by_value
    .group_segment_fixed_size: 0
    .kernarg_segment_align: 8
    .kernarg_segment_size: 112
    .language:       OpenCL C
    .language_version:
      - 2
      - 0
    .max_flat_workgroup_size: 192
    .name:           _ZN7rocprim17ROCPRIM_400000_NS6detail17trampoline_kernelINS0_14default_configENS1_25partition_config_selectorILNS1_17partition_subalgoE9EllbEEZZNS1_14partition_implILS5_9ELb0ES3_jPKlN6thrust23THRUST_200600_302600_NS17counting_iteratorIlNSB_11use_defaultESD_SD_EEPNS0_10empty_typeENS0_5tupleIJPlSF_EEENSH_IJSI_SG_EEENS0_18inequality_wrapperIN6hipcub16HIPCUB_304000_NS8EqualityEEESI_JSF_EEE10hipError_tPvRmT3_T4_T5_T6_T7_T9_mT8_P12ihipStream_tbDpT10_ENKUlT_T0_E_clISt17integral_constantIbLb1EES18_IbLb0EEEEDaS14_S15_EUlS14_E_NS1_11comp_targetILNS1_3genE2ELNS1_11target_archE906ELNS1_3gpuE6ELNS1_3repE0EEENS1_30default_config_static_selectorELNS0_4arch9wavefront6targetE1EEEvT1_
    .private_segment_fixed_size: 0
    .sgpr_count:     4
    .sgpr_spill_count: 0
    .symbol:         _ZN7rocprim17ROCPRIM_400000_NS6detail17trampoline_kernelINS0_14default_configENS1_25partition_config_selectorILNS1_17partition_subalgoE9EllbEEZZNS1_14partition_implILS5_9ELb0ES3_jPKlN6thrust23THRUST_200600_302600_NS17counting_iteratorIlNSB_11use_defaultESD_SD_EEPNS0_10empty_typeENS0_5tupleIJPlSF_EEENSH_IJSI_SG_EEENS0_18inequality_wrapperIN6hipcub16HIPCUB_304000_NS8EqualityEEESI_JSF_EEE10hipError_tPvRmT3_T4_T5_T6_T7_T9_mT8_P12ihipStream_tbDpT10_ENKUlT_T0_E_clISt17integral_constantIbLb1EES18_IbLb0EEEEDaS14_S15_EUlS14_E_NS1_11comp_targetILNS1_3genE2ELNS1_11target_archE906ELNS1_3gpuE6ELNS1_3repE0EEENS1_30default_config_static_selectorELNS0_4arch9wavefront6targetE1EEEvT1_.kd
    .uniform_work_group_size: 1
    .uses_dynamic_stack: false
    .vgpr_count:     0
    .vgpr_spill_count: 0
    .wavefront_size: 64
  - .agpr_count:     0
    .args:
      - .offset:         0
        .size:           112
        .value_kind:     by_value
    .group_segment_fixed_size: 0
    .kernarg_segment_align: 8
    .kernarg_segment_size: 112
    .language:       OpenCL C
    .language_version:
      - 2
      - 0
    .max_flat_workgroup_size: 384
    .name:           _ZN7rocprim17ROCPRIM_400000_NS6detail17trampoline_kernelINS0_14default_configENS1_25partition_config_selectorILNS1_17partition_subalgoE9EllbEEZZNS1_14partition_implILS5_9ELb0ES3_jPKlN6thrust23THRUST_200600_302600_NS17counting_iteratorIlNSB_11use_defaultESD_SD_EEPNS0_10empty_typeENS0_5tupleIJPlSF_EEENSH_IJSI_SG_EEENS0_18inequality_wrapperIN6hipcub16HIPCUB_304000_NS8EqualityEEESI_JSF_EEE10hipError_tPvRmT3_T4_T5_T6_T7_T9_mT8_P12ihipStream_tbDpT10_ENKUlT_T0_E_clISt17integral_constantIbLb1EES18_IbLb0EEEEDaS14_S15_EUlS14_E_NS1_11comp_targetILNS1_3genE10ELNS1_11target_archE1200ELNS1_3gpuE4ELNS1_3repE0EEENS1_30default_config_static_selectorELNS0_4arch9wavefront6targetE1EEEvT1_
    .private_segment_fixed_size: 0
    .sgpr_count:     4
    .sgpr_spill_count: 0
    .symbol:         _ZN7rocprim17ROCPRIM_400000_NS6detail17trampoline_kernelINS0_14default_configENS1_25partition_config_selectorILNS1_17partition_subalgoE9EllbEEZZNS1_14partition_implILS5_9ELb0ES3_jPKlN6thrust23THRUST_200600_302600_NS17counting_iteratorIlNSB_11use_defaultESD_SD_EEPNS0_10empty_typeENS0_5tupleIJPlSF_EEENSH_IJSI_SG_EEENS0_18inequality_wrapperIN6hipcub16HIPCUB_304000_NS8EqualityEEESI_JSF_EEE10hipError_tPvRmT3_T4_T5_T6_T7_T9_mT8_P12ihipStream_tbDpT10_ENKUlT_T0_E_clISt17integral_constantIbLb1EES18_IbLb0EEEEDaS14_S15_EUlS14_E_NS1_11comp_targetILNS1_3genE10ELNS1_11target_archE1200ELNS1_3gpuE4ELNS1_3repE0EEENS1_30default_config_static_selectorELNS0_4arch9wavefront6targetE1EEEvT1_.kd
    .uniform_work_group_size: 1
    .uses_dynamic_stack: false
    .vgpr_count:     0
    .vgpr_spill_count: 0
    .wavefront_size: 64
  - .agpr_count:     0
    .args:
      - .offset:         0
        .size:           112
        .value_kind:     by_value
    .group_segment_fixed_size: 0
    .kernarg_segment_align: 8
    .kernarg_segment_size: 112
    .language:       OpenCL C
    .language_version:
      - 2
      - 0
    .max_flat_workgroup_size: 512
    .name:           _ZN7rocprim17ROCPRIM_400000_NS6detail17trampoline_kernelINS0_14default_configENS1_25partition_config_selectorILNS1_17partition_subalgoE9EllbEEZZNS1_14partition_implILS5_9ELb0ES3_jPKlN6thrust23THRUST_200600_302600_NS17counting_iteratorIlNSB_11use_defaultESD_SD_EEPNS0_10empty_typeENS0_5tupleIJPlSF_EEENSH_IJSI_SG_EEENS0_18inequality_wrapperIN6hipcub16HIPCUB_304000_NS8EqualityEEESI_JSF_EEE10hipError_tPvRmT3_T4_T5_T6_T7_T9_mT8_P12ihipStream_tbDpT10_ENKUlT_T0_E_clISt17integral_constantIbLb1EES18_IbLb0EEEEDaS14_S15_EUlS14_E_NS1_11comp_targetILNS1_3genE9ELNS1_11target_archE1100ELNS1_3gpuE3ELNS1_3repE0EEENS1_30default_config_static_selectorELNS0_4arch9wavefront6targetE1EEEvT1_
    .private_segment_fixed_size: 0
    .sgpr_count:     4
    .sgpr_spill_count: 0
    .symbol:         _ZN7rocprim17ROCPRIM_400000_NS6detail17trampoline_kernelINS0_14default_configENS1_25partition_config_selectorILNS1_17partition_subalgoE9EllbEEZZNS1_14partition_implILS5_9ELb0ES3_jPKlN6thrust23THRUST_200600_302600_NS17counting_iteratorIlNSB_11use_defaultESD_SD_EEPNS0_10empty_typeENS0_5tupleIJPlSF_EEENSH_IJSI_SG_EEENS0_18inequality_wrapperIN6hipcub16HIPCUB_304000_NS8EqualityEEESI_JSF_EEE10hipError_tPvRmT3_T4_T5_T6_T7_T9_mT8_P12ihipStream_tbDpT10_ENKUlT_T0_E_clISt17integral_constantIbLb1EES18_IbLb0EEEEDaS14_S15_EUlS14_E_NS1_11comp_targetILNS1_3genE9ELNS1_11target_archE1100ELNS1_3gpuE3ELNS1_3repE0EEENS1_30default_config_static_selectorELNS0_4arch9wavefront6targetE1EEEvT1_.kd
    .uniform_work_group_size: 1
    .uses_dynamic_stack: false
    .vgpr_count:     0
    .vgpr_spill_count: 0
    .wavefront_size: 64
  - .agpr_count:     0
    .args:
      - .offset:         0
        .size:           112
        .value_kind:     by_value
    .group_segment_fixed_size: 0
    .kernarg_segment_align: 8
    .kernarg_segment_size: 112
    .language:       OpenCL C
    .language_version:
      - 2
      - 0
    .max_flat_workgroup_size: 512
    .name:           _ZN7rocprim17ROCPRIM_400000_NS6detail17trampoline_kernelINS0_14default_configENS1_25partition_config_selectorILNS1_17partition_subalgoE9EllbEEZZNS1_14partition_implILS5_9ELb0ES3_jPKlN6thrust23THRUST_200600_302600_NS17counting_iteratorIlNSB_11use_defaultESD_SD_EEPNS0_10empty_typeENS0_5tupleIJPlSF_EEENSH_IJSI_SG_EEENS0_18inequality_wrapperIN6hipcub16HIPCUB_304000_NS8EqualityEEESI_JSF_EEE10hipError_tPvRmT3_T4_T5_T6_T7_T9_mT8_P12ihipStream_tbDpT10_ENKUlT_T0_E_clISt17integral_constantIbLb1EES18_IbLb0EEEEDaS14_S15_EUlS14_E_NS1_11comp_targetILNS1_3genE8ELNS1_11target_archE1030ELNS1_3gpuE2ELNS1_3repE0EEENS1_30default_config_static_selectorELNS0_4arch9wavefront6targetE1EEEvT1_
    .private_segment_fixed_size: 0
    .sgpr_count:     4
    .sgpr_spill_count: 0
    .symbol:         _ZN7rocprim17ROCPRIM_400000_NS6detail17trampoline_kernelINS0_14default_configENS1_25partition_config_selectorILNS1_17partition_subalgoE9EllbEEZZNS1_14partition_implILS5_9ELb0ES3_jPKlN6thrust23THRUST_200600_302600_NS17counting_iteratorIlNSB_11use_defaultESD_SD_EEPNS0_10empty_typeENS0_5tupleIJPlSF_EEENSH_IJSI_SG_EEENS0_18inequality_wrapperIN6hipcub16HIPCUB_304000_NS8EqualityEEESI_JSF_EEE10hipError_tPvRmT3_T4_T5_T6_T7_T9_mT8_P12ihipStream_tbDpT10_ENKUlT_T0_E_clISt17integral_constantIbLb1EES18_IbLb0EEEEDaS14_S15_EUlS14_E_NS1_11comp_targetILNS1_3genE8ELNS1_11target_archE1030ELNS1_3gpuE2ELNS1_3repE0EEENS1_30default_config_static_selectorELNS0_4arch9wavefront6targetE1EEEvT1_.kd
    .uniform_work_group_size: 1
    .uses_dynamic_stack: false
    .vgpr_count:     0
    .vgpr_spill_count: 0
    .wavefront_size: 64
  - .agpr_count:     0
    .args:
      - .offset:         0
        .size:           128
        .value_kind:     by_value
    .group_segment_fixed_size: 0
    .kernarg_segment_align: 8
    .kernarg_segment_size: 128
    .language:       OpenCL C
    .language_version:
      - 2
      - 0
    .max_flat_workgroup_size: 128
    .name:           _ZN7rocprim17ROCPRIM_400000_NS6detail17trampoline_kernelINS0_14default_configENS1_25partition_config_selectorILNS1_17partition_subalgoE9EllbEEZZNS1_14partition_implILS5_9ELb0ES3_jPKlN6thrust23THRUST_200600_302600_NS17counting_iteratorIlNSB_11use_defaultESD_SD_EEPNS0_10empty_typeENS0_5tupleIJPlSF_EEENSH_IJSI_SG_EEENS0_18inequality_wrapperIN6hipcub16HIPCUB_304000_NS8EqualityEEESI_JSF_EEE10hipError_tPvRmT3_T4_T5_T6_T7_T9_mT8_P12ihipStream_tbDpT10_ENKUlT_T0_E_clISt17integral_constantIbLb0EES18_IbLb1EEEEDaS14_S15_EUlS14_E_NS1_11comp_targetILNS1_3genE0ELNS1_11target_archE4294967295ELNS1_3gpuE0ELNS1_3repE0EEENS1_30default_config_static_selectorELNS0_4arch9wavefront6targetE1EEEvT1_
    .private_segment_fixed_size: 0
    .sgpr_count:     4
    .sgpr_spill_count: 0
    .symbol:         _ZN7rocprim17ROCPRIM_400000_NS6detail17trampoline_kernelINS0_14default_configENS1_25partition_config_selectorILNS1_17partition_subalgoE9EllbEEZZNS1_14partition_implILS5_9ELb0ES3_jPKlN6thrust23THRUST_200600_302600_NS17counting_iteratorIlNSB_11use_defaultESD_SD_EEPNS0_10empty_typeENS0_5tupleIJPlSF_EEENSH_IJSI_SG_EEENS0_18inequality_wrapperIN6hipcub16HIPCUB_304000_NS8EqualityEEESI_JSF_EEE10hipError_tPvRmT3_T4_T5_T6_T7_T9_mT8_P12ihipStream_tbDpT10_ENKUlT_T0_E_clISt17integral_constantIbLb0EES18_IbLb1EEEEDaS14_S15_EUlS14_E_NS1_11comp_targetILNS1_3genE0ELNS1_11target_archE4294967295ELNS1_3gpuE0ELNS1_3repE0EEENS1_30default_config_static_selectorELNS0_4arch9wavefront6targetE1EEEvT1_.kd
    .uniform_work_group_size: 1
    .uses_dynamic_stack: false
    .vgpr_count:     0
    .vgpr_spill_count: 0
    .wavefront_size: 64
  - .agpr_count:     0
    .args:
      - .offset:         0
        .size:           128
        .value_kind:     by_value
    .group_segment_fixed_size: 0
    .kernarg_segment_align: 8
    .kernarg_segment_size: 128
    .language:       OpenCL C
    .language_version:
      - 2
      - 0
    .max_flat_workgroup_size: 512
    .name:           _ZN7rocprim17ROCPRIM_400000_NS6detail17trampoline_kernelINS0_14default_configENS1_25partition_config_selectorILNS1_17partition_subalgoE9EllbEEZZNS1_14partition_implILS5_9ELb0ES3_jPKlN6thrust23THRUST_200600_302600_NS17counting_iteratorIlNSB_11use_defaultESD_SD_EEPNS0_10empty_typeENS0_5tupleIJPlSF_EEENSH_IJSI_SG_EEENS0_18inequality_wrapperIN6hipcub16HIPCUB_304000_NS8EqualityEEESI_JSF_EEE10hipError_tPvRmT3_T4_T5_T6_T7_T9_mT8_P12ihipStream_tbDpT10_ENKUlT_T0_E_clISt17integral_constantIbLb0EES18_IbLb1EEEEDaS14_S15_EUlS14_E_NS1_11comp_targetILNS1_3genE5ELNS1_11target_archE942ELNS1_3gpuE9ELNS1_3repE0EEENS1_30default_config_static_selectorELNS0_4arch9wavefront6targetE1EEEvT1_
    .private_segment_fixed_size: 0
    .sgpr_count:     4
    .sgpr_spill_count: 0
    .symbol:         _ZN7rocprim17ROCPRIM_400000_NS6detail17trampoline_kernelINS0_14default_configENS1_25partition_config_selectorILNS1_17partition_subalgoE9EllbEEZZNS1_14partition_implILS5_9ELb0ES3_jPKlN6thrust23THRUST_200600_302600_NS17counting_iteratorIlNSB_11use_defaultESD_SD_EEPNS0_10empty_typeENS0_5tupleIJPlSF_EEENSH_IJSI_SG_EEENS0_18inequality_wrapperIN6hipcub16HIPCUB_304000_NS8EqualityEEESI_JSF_EEE10hipError_tPvRmT3_T4_T5_T6_T7_T9_mT8_P12ihipStream_tbDpT10_ENKUlT_T0_E_clISt17integral_constantIbLb0EES18_IbLb1EEEEDaS14_S15_EUlS14_E_NS1_11comp_targetILNS1_3genE5ELNS1_11target_archE942ELNS1_3gpuE9ELNS1_3repE0EEENS1_30default_config_static_selectorELNS0_4arch9wavefront6targetE1EEEvT1_.kd
    .uniform_work_group_size: 1
    .uses_dynamic_stack: false
    .vgpr_count:     0
    .vgpr_spill_count: 0
    .wavefront_size: 64
  - .agpr_count:     0
    .args:
      - .offset:         0
        .size:           128
        .value_kind:     by_value
    .group_segment_fixed_size: 4232
    .kernarg_segment_align: 8
    .kernarg_segment_size: 128
    .language:       OpenCL C
    .language_version:
      - 2
      - 0
    .max_flat_workgroup_size: 128
    .name:           _ZN7rocprim17ROCPRIM_400000_NS6detail17trampoline_kernelINS0_14default_configENS1_25partition_config_selectorILNS1_17partition_subalgoE9EllbEEZZNS1_14partition_implILS5_9ELb0ES3_jPKlN6thrust23THRUST_200600_302600_NS17counting_iteratorIlNSB_11use_defaultESD_SD_EEPNS0_10empty_typeENS0_5tupleIJPlSF_EEENSH_IJSI_SG_EEENS0_18inequality_wrapperIN6hipcub16HIPCUB_304000_NS8EqualityEEESI_JSF_EEE10hipError_tPvRmT3_T4_T5_T6_T7_T9_mT8_P12ihipStream_tbDpT10_ENKUlT_T0_E_clISt17integral_constantIbLb0EES18_IbLb1EEEEDaS14_S15_EUlS14_E_NS1_11comp_targetILNS1_3genE4ELNS1_11target_archE910ELNS1_3gpuE8ELNS1_3repE0EEENS1_30default_config_static_selectorELNS0_4arch9wavefront6targetE1EEEvT1_
    .private_segment_fixed_size: 0
    .sgpr_count:     46
    .sgpr_spill_count: 0
    .symbol:         _ZN7rocprim17ROCPRIM_400000_NS6detail17trampoline_kernelINS0_14default_configENS1_25partition_config_selectorILNS1_17partition_subalgoE9EllbEEZZNS1_14partition_implILS5_9ELb0ES3_jPKlN6thrust23THRUST_200600_302600_NS17counting_iteratorIlNSB_11use_defaultESD_SD_EEPNS0_10empty_typeENS0_5tupleIJPlSF_EEENSH_IJSI_SG_EEENS0_18inequality_wrapperIN6hipcub16HIPCUB_304000_NS8EqualityEEESI_JSF_EEE10hipError_tPvRmT3_T4_T5_T6_T7_T9_mT8_P12ihipStream_tbDpT10_ENKUlT_T0_E_clISt17integral_constantIbLb0EES18_IbLb1EEEEDaS14_S15_EUlS14_E_NS1_11comp_targetILNS1_3genE4ELNS1_11target_archE910ELNS1_3gpuE8ELNS1_3repE0EEENS1_30default_config_static_selectorELNS0_4arch9wavefront6targetE1EEEvT1_.kd
    .uniform_work_group_size: 1
    .uses_dynamic_stack: false
    .vgpr_count:     50
    .vgpr_spill_count: 0
    .wavefront_size: 64
  - .agpr_count:     0
    .args:
      - .offset:         0
        .size:           128
        .value_kind:     by_value
    .group_segment_fixed_size: 0
    .kernarg_segment_align: 8
    .kernarg_segment_size: 128
    .language:       OpenCL C
    .language_version:
      - 2
      - 0
    .max_flat_workgroup_size: 128
    .name:           _ZN7rocprim17ROCPRIM_400000_NS6detail17trampoline_kernelINS0_14default_configENS1_25partition_config_selectorILNS1_17partition_subalgoE9EllbEEZZNS1_14partition_implILS5_9ELb0ES3_jPKlN6thrust23THRUST_200600_302600_NS17counting_iteratorIlNSB_11use_defaultESD_SD_EEPNS0_10empty_typeENS0_5tupleIJPlSF_EEENSH_IJSI_SG_EEENS0_18inequality_wrapperIN6hipcub16HIPCUB_304000_NS8EqualityEEESI_JSF_EEE10hipError_tPvRmT3_T4_T5_T6_T7_T9_mT8_P12ihipStream_tbDpT10_ENKUlT_T0_E_clISt17integral_constantIbLb0EES18_IbLb1EEEEDaS14_S15_EUlS14_E_NS1_11comp_targetILNS1_3genE3ELNS1_11target_archE908ELNS1_3gpuE7ELNS1_3repE0EEENS1_30default_config_static_selectorELNS0_4arch9wavefront6targetE1EEEvT1_
    .private_segment_fixed_size: 0
    .sgpr_count:     4
    .sgpr_spill_count: 0
    .symbol:         _ZN7rocprim17ROCPRIM_400000_NS6detail17trampoline_kernelINS0_14default_configENS1_25partition_config_selectorILNS1_17partition_subalgoE9EllbEEZZNS1_14partition_implILS5_9ELb0ES3_jPKlN6thrust23THRUST_200600_302600_NS17counting_iteratorIlNSB_11use_defaultESD_SD_EEPNS0_10empty_typeENS0_5tupleIJPlSF_EEENSH_IJSI_SG_EEENS0_18inequality_wrapperIN6hipcub16HIPCUB_304000_NS8EqualityEEESI_JSF_EEE10hipError_tPvRmT3_T4_T5_T6_T7_T9_mT8_P12ihipStream_tbDpT10_ENKUlT_T0_E_clISt17integral_constantIbLb0EES18_IbLb1EEEEDaS14_S15_EUlS14_E_NS1_11comp_targetILNS1_3genE3ELNS1_11target_archE908ELNS1_3gpuE7ELNS1_3repE0EEENS1_30default_config_static_selectorELNS0_4arch9wavefront6targetE1EEEvT1_.kd
    .uniform_work_group_size: 1
    .uses_dynamic_stack: false
    .vgpr_count:     0
    .vgpr_spill_count: 0
    .wavefront_size: 64
  - .agpr_count:     0
    .args:
      - .offset:         0
        .size:           128
        .value_kind:     by_value
    .group_segment_fixed_size: 0
    .kernarg_segment_align: 8
    .kernarg_segment_size: 128
    .language:       OpenCL C
    .language_version:
      - 2
      - 0
    .max_flat_workgroup_size: 192
    .name:           _ZN7rocprim17ROCPRIM_400000_NS6detail17trampoline_kernelINS0_14default_configENS1_25partition_config_selectorILNS1_17partition_subalgoE9EllbEEZZNS1_14partition_implILS5_9ELb0ES3_jPKlN6thrust23THRUST_200600_302600_NS17counting_iteratorIlNSB_11use_defaultESD_SD_EEPNS0_10empty_typeENS0_5tupleIJPlSF_EEENSH_IJSI_SG_EEENS0_18inequality_wrapperIN6hipcub16HIPCUB_304000_NS8EqualityEEESI_JSF_EEE10hipError_tPvRmT3_T4_T5_T6_T7_T9_mT8_P12ihipStream_tbDpT10_ENKUlT_T0_E_clISt17integral_constantIbLb0EES18_IbLb1EEEEDaS14_S15_EUlS14_E_NS1_11comp_targetILNS1_3genE2ELNS1_11target_archE906ELNS1_3gpuE6ELNS1_3repE0EEENS1_30default_config_static_selectorELNS0_4arch9wavefront6targetE1EEEvT1_
    .private_segment_fixed_size: 0
    .sgpr_count:     4
    .sgpr_spill_count: 0
    .symbol:         _ZN7rocprim17ROCPRIM_400000_NS6detail17trampoline_kernelINS0_14default_configENS1_25partition_config_selectorILNS1_17partition_subalgoE9EllbEEZZNS1_14partition_implILS5_9ELb0ES3_jPKlN6thrust23THRUST_200600_302600_NS17counting_iteratorIlNSB_11use_defaultESD_SD_EEPNS0_10empty_typeENS0_5tupleIJPlSF_EEENSH_IJSI_SG_EEENS0_18inequality_wrapperIN6hipcub16HIPCUB_304000_NS8EqualityEEESI_JSF_EEE10hipError_tPvRmT3_T4_T5_T6_T7_T9_mT8_P12ihipStream_tbDpT10_ENKUlT_T0_E_clISt17integral_constantIbLb0EES18_IbLb1EEEEDaS14_S15_EUlS14_E_NS1_11comp_targetILNS1_3genE2ELNS1_11target_archE906ELNS1_3gpuE6ELNS1_3repE0EEENS1_30default_config_static_selectorELNS0_4arch9wavefront6targetE1EEEvT1_.kd
    .uniform_work_group_size: 1
    .uses_dynamic_stack: false
    .vgpr_count:     0
    .vgpr_spill_count: 0
    .wavefront_size: 64
  - .agpr_count:     0
    .args:
      - .offset:         0
        .size:           128
        .value_kind:     by_value
    .group_segment_fixed_size: 0
    .kernarg_segment_align: 8
    .kernarg_segment_size: 128
    .language:       OpenCL C
    .language_version:
      - 2
      - 0
    .max_flat_workgroup_size: 384
    .name:           _ZN7rocprim17ROCPRIM_400000_NS6detail17trampoline_kernelINS0_14default_configENS1_25partition_config_selectorILNS1_17partition_subalgoE9EllbEEZZNS1_14partition_implILS5_9ELb0ES3_jPKlN6thrust23THRUST_200600_302600_NS17counting_iteratorIlNSB_11use_defaultESD_SD_EEPNS0_10empty_typeENS0_5tupleIJPlSF_EEENSH_IJSI_SG_EEENS0_18inequality_wrapperIN6hipcub16HIPCUB_304000_NS8EqualityEEESI_JSF_EEE10hipError_tPvRmT3_T4_T5_T6_T7_T9_mT8_P12ihipStream_tbDpT10_ENKUlT_T0_E_clISt17integral_constantIbLb0EES18_IbLb1EEEEDaS14_S15_EUlS14_E_NS1_11comp_targetILNS1_3genE10ELNS1_11target_archE1200ELNS1_3gpuE4ELNS1_3repE0EEENS1_30default_config_static_selectorELNS0_4arch9wavefront6targetE1EEEvT1_
    .private_segment_fixed_size: 0
    .sgpr_count:     4
    .sgpr_spill_count: 0
    .symbol:         _ZN7rocprim17ROCPRIM_400000_NS6detail17trampoline_kernelINS0_14default_configENS1_25partition_config_selectorILNS1_17partition_subalgoE9EllbEEZZNS1_14partition_implILS5_9ELb0ES3_jPKlN6thrust23THRUST_200600_302600_NS17counting_iteratorIlNSB_11use_defaultESD_SD_EEPNS0_10empty_typeENS0_5tupleIJPlSF_EEENSH_IJSI_SG_EEENS0_18inequality_wrapperIN6hipcub16HIPCUB_304000_NS8EqualityEEESI_JSF_EEE10hipError_tPvRmT3_T4_T5_T6_T7_T9_mT8_P12ihipStream_tbDpT10_ENKUlT_T0_E_clISt17integral_constantIbLb0EES18_IbLb1EEEEDaS14_S15_EUlS14_E_NS1_11comp_targetILNS1_3genE10ELNS1_11target_archE1200ELNS1_3gpuE4ELNS1_3repE0EEENS1_30default_config_static_selectorELNS0_4arch9wavefront6targetE1EEEvT1_.kd
    .uniform_work_group_size: 1
    .uses_dynamic_stack: false
    .vgpr_count:     0
    .vgpr_spill_count: 0
    .wavefront_size: 64
  - .agpr_count:     0
    .args:
      - .offset:         0
        .size:           128
        .value_kind:     by_value
    .group_segment_fixed_size: 0
    .kernarg_segment_align: 8
    .kernarg_segment_size: 128
    .language:       OpenCL C
    .language_version:
      - 2
      - 0
    .max_flat_workgroup_size: 512
    .name:           _ZN7rocprim17ROCPRIM_400000_NS6detail17trampoline_kernelINS0_14default_configENS1_25partition_config_selectorILNS1_17partition_subalgoE9EllbEEZZNS1_14partition_implILS5_9ELb0ES3_jPKlN6thrust23THRUST_200600_302600_NS17counting_iteratorIlNSB_11use_defaultESD_SD_EEPNS0_10empty_typeENS0_5tupleIJPlSF_EEENSH_IJSI_SG_EEENS0_18inequality_wrapperIN6hipcub16HIPCUB_304000_NS8EqualityEEESI_JSF_EEE10hipError_tPvRmT3_T4_T5_T6_T7_T9_mT8_P12ihipStream_tbDpT10_ENKUlT_T0_E_clISt17integral_constantIbLb0EES18_IbLb1EEEEDaS14_S15_EUlS14_E_NS1_11comp_targetILNS1_3genE9ELNS1_11target_archE1100ELNS1_3gpuE3ELNS1_3repE0EEENS1_30default_config_static_selectorELNS0_4arch9wavefront6targetE1EEEvT1_
    .private_segment_fixed_size: 0
    .sgpr_count:     4
    .sgpr_spill_count: 0
    .symbol:         _ZN7rocprim17ROCPRIM_400000_NS6detail17trampoline_kernelINS0_14default_configENS1_25partition_config_selectorILNS1_17partition_subalgoE9EllbEEZZNS1_14partition_implILS5_9ELb0ES3_jPKlN6thrust23THRUST_200600_302600_NS17counting_iteratorIlNSB_11use_defaultESD_SD_EEPNS0_10empty_typeENS0_5tupleIJPlSF_EEENSH_IJSI_SG_EEENS0_18inequality_wrapperIN6hipcub16HIPCUB_304000_NS8EqualityEEESI_JSF_EEE10hipError_tPvRmT3_T4_T5_T6_T7_T9_mT8_P12ihipStream_tbDpT10_ENKUlT_T0_E_clISt17integral_constantIbLb0EES18_IbLb1EEEEDaS14_S15_EUlS14_E_NS1_11comp_targetILNS1_3genE9ELNS1_11target_archE1100ELNS1_3gpuE3ELNS1_3repE0EEENS1_30default_config_static_selectorELNS0_4arch9wavefront6targetE1EEEvT1_.kd
    .uniform_work_group_size: 1
    .uses_dynamic_stack: false
    .vgpr_count:     0
    .vgpr_spill_count: 0
    .wavefront_size: 64
  - .agpr_count:     0
    .args:
      - .offset:         0
        .size:           128
        .value_kind:     by_value
    .group_segment_fixed_size: 0
    .kernarg_segment_align: 8
    .kernarg_segment_size: 128
    .language:       OpenCL C
    .language_version:
      - 2
      - 0
    .max_flat_workgroup_size: 512
    .name:           _ZN7rocprim17ROCPRIM_400000_NS6detail17trampoline_kernelINS0_14default_configENS1_25partition_config_selectorILNS1_17partition_subalgoE9EllbEEZZNS1_14partition_implILS5_9ELb0ES3_jPKlN6thrust23THRUST_200600_302600_NS17counting_iteratorIlNSB_11use_defaultESD_SD_EEPNS0_10empty_typeENS0_5tupleIJPlSF_EEENSH_IJSI_SG_EEENS0_18inequality_wrapperIN6hipcub16HIPCUB_304000_NS8EqualityEEESI_JSF_EEE10hipError_tPvRmT3_T4_T5_T6_T7_T9_mT8_P12ihipStream_tbDpT10_ENKUlT_T0_E_clISt17integral_constantIbLb0EES18_IbLb1EEEEDaS14_S15_EUlS14_E_NS1_11comp_targetILNS1_3genE8ELNS1_11target_archE1030ELNS1_3gpuE2ELNS1_3repE0EEENS1_30default_config_static_selectorELNS0_4arch9wavefront6targetE1EEEvT1_
    .private_segment_fixed_size: 0
    .sgpr_count:     4
    .sgpr_spill_count: 0
    .symbol:         _ZN7rocprim17ROCPRIM_400000_NS6detail17trampoline_kernelINS0_14default_configENS1_25partition_config_selectorILNS1_17partition_subalgoE9EllbEEZZNS1_14partition_implILS5_9ELb0ES3_jPKlN6thrust23THRUST_200600_302600_NS17counting_iteratorIlNSB_11use_defaultESD_SD_EEPNS0_10empty_typeENS0_5tupleIJPlSF_EEENSH_IJSI_SG_EEENS0_18inequality_wrapperIN6hipcub16HIPCUB_304000_NS8EqualityEEESI_JSF_EEE10hipError_tPvRmT3_T4_T5_T6_T7_T9_mT8_P12ihipStream_tbDpT10_ENKUlT_T0_E_clISt17integral_constantIbLb0EES18_IbLb1EEEEDaS14_S15_EUlS14_E_NS1_11comp_targetILNS1_3genE8ELNS1_11target_archE1030ELNS1_3gpuE2ELNS1_3repE0EEENS1_30default_config_static_selectorELNS0_4arch9wavefront6targetE1EEEvT1_.kd
    .uniform_work_group_size: 1
    .uses_dynamic_stack: false
    .vgpr_count:     0
    .vgpr_spill_count: 0
    .wavefront_size: 64
  - .agpr_count:     0
    .args:
      - .address_space:  global
        .offset:         0
        .size:           8
        .value_kind:     global_buffer
      - .address_space:  global
        .offset:         8
        .size:           8
        .value_kind:     global_buffer
      - .address_space:  global
        .offset:         16
        .size:           8
        .value_kind:     global_buffer
      - .offset:         24
        .size:           8
        .value_kind:     by_value
      - .offset:         32
        .size:           4
        .value_kind:     hidden_block_count_x
      - .offset:         36
        .size:           4
        .value_kind:     hidden_block_count_y
      - .offset:         40
        .size:           4
        .value_kind:     hidden_block_count_z
      - .offset:         44
        .size:           2
        .value_kind:     hidden_group_size_x
      - .offset:         46
        .size:           2
        .value_kind:     hidden_group_size_y
      - .offset:         48
        .size:           2
        .value_kind:     hidden_group_size_z
      - .offset:         50
        .size:           2
        .value_kind:     hidden_remainder_x
      - .offset:         52
        .size:           2
        .value_kind:     hidden_remainder_y
      - .offset:         54
        .size:           2
        .value_kind:     hidden_remainder_z
      - .offset:         72
        .size:           8
        .value_kind:     hidden_global_offset_x
      - .offset:         80
        .size:           8
        .value_kind:     hidden_global_offset_y
      - .offset:         88
        .size:           8
        .value_kind:     hidden_global_offset_z
      - .offset:         96
        .size:           2
        .value_kind:     hidden_grid_dims
    .group_segment_fixed_size: 0
    .kernarg_segment_align: 8
    .kernarg_segment_size: 288
    .language:       OpenCL C
    .language_version:
      - 2
      - 0
    .max_flat_workgroup_size: 1024
    .name:           _ZN2at6native12_GLOBAL__N_124krn_partials_per_segmentIiEEvPT_PKS3_PKll
    .private_segment_fixed_size: 0
    .sgpr_count:     20
    .sgpr_spill_count: 0
    .symbol:         _ZN2at6native12_GLOBAL__N_124krn_partials_per_segmentIiEEvPT_PKS3_PKll.kd
    .uniform_work_group_size: 1
    .uses_dynamic_stack: false
    .vgpr_count:     11
    .vgpr_spill_count: 0
    .wavefront_size: 64
  - .agpr_count:     0
    .args:
      - .address_space:  global
        .offset:         0
        .size:           8
        .value_kind:     global_buffer
      - .address_space:  global
        .offset:         8
        .size:           8
        .value_kind:     global_buffer
      - .address_space:  global
        .offset:         16
        .size:           8
        .value_kind:     global_buffer
      - .address_space:  global
        .offset:         24
        .size:           8
        .value_kind:     global_buffer
    .group_segment_fixed_size: 0
    .kernarg_segment_align: 8
    .kernarg_segment_size: 32
    .language:       OpenCL C
    .language_version:
      - 2
      - 0
    .max_flat_workgroup_size: 1024
    .name:           _ZN2at6native12_GLOBAL__N_131compute_num_of_partial_segmentsIiEEvPKT_S5_PKlPl
    .private_segment_fixed_size: 0
    .sgpr_count:     13
    .sgpr_spill_count: 0
    .symbol:         _ZN2at6native12_GLOBAL__N_131compute_num_of_partial_segmentsIiEEvPKT_S5_PKlPl.kd
    .uniform_work_group_size: 1
    .uses_dynamic_stack: false
    .vgpr_count:     3
    .vgpr_spill_count: 0
    .wavefront_size: 64
  - .agpr_count:     0
    .args:
      - .address_space:  global
        .offset:         0
        .size:           8
        .value_kind:     global_buffer
      - .address_space:  global
        .offset:         8
        .size:           8
        .value_kind:     global_buffer
      - .address_space:  global
        .offset:         16
        .size:           8
        .value_kind:     global_buffer
      - .address_space:  global
        .offset:         24
        .size:           8
        .value_kind:     global_buffer
      - .address_space:  global
        .offset:         32
        .size:           8
        .value_kind:     global_buffer
      - .offset:         40
        .size:           4
        .value_kind:     hidden_block_count_x
      - .offset:         44
        .size:           4
        .value_kind:     hidden_block_count_y
      - .offset:         48
        .size:           4
        .value_kind:     hidden_block_count_z
      - .offset:         52
        .size:           2
        .value_kind:     hidden_group_size_x
      - .offset:         54
        .size:           2
        .value_kind:     hidden_group_size_y
      - .offset:         56
        .size:           2
        .value_kind:     hidden_group_size_z
      - .offset:         58
        .size:           2
        .value_kind:     hidden_remainder_x
      - .offset:         60
        .size:           2
        .value_kind:     hidden_remainder_y
      - .offset:         62
        .size:           2
        .value_kind:     hidden_remainder_z
      - .offset:         80
        .size:           8
        .value_kind:     hidden_global_offset_x
      - .offset:         88
        .size:           8
        .value_kind:     hidden_global_offset_y
      - .offset:         96
        .size:           8
        .value_kind:     hidden_global_offset_z
      - .offset:         104
        .size:           2
        .value_kind:     hidden_grid_dims
    .group_segment_fixed_size: 0
    .kernarg_segment_align: 8
    .kernarg_segment_size: 296
    .language:       OpenCL C
    .language_version:
      - 2
      - 0
    .max_flat_workgroup_size: 1024
    .name:           _ZN2at6native12_GLOBAL__N_126krn_partial_segment_offsetIiEEvPT_PKS3_S6_S6_PKl
    .private_segment_fixed_size: 0
    .sgpr_count:     16
    .sgpr_spill_count: 0
    .symbol:         _ZN2at6native12_GLOBAL__N_126krn_partial_segment_offsetIiEEvPT_PKS3_S6_S6_PKl.kd
    .uniform_work_group_size: 1
    .uses_dynamic_stack: false
    .vgpr_count:     18
    .vgpr_spill_count: 0
    .wavefront_size: 64
  - .agpr_count:     0
    .args:
      - .address_space:  global
        .offset:         0
        .size:           8
        .value_kind:     global_buffer
      - .address_space:  global
        .offset:         8
        .size:           8
        .value_kind:     global_buffer
      - .address_space:  global
        .offset:         16
        .size:           8
        .value_kind:     global_buffer
      - .address_space:  global
        .offset:         24
        .size:           8
        .value_kind:     global_buffer
      - .offset:         32
        .size:           4
        .value_kind:     hidden_block_count_x
      - .offset:         36
        .size:           4
        .value_kind:     hidden_block_count_y
      - .offset:         40
        .size:           4
        .value_kind:     hidden_block_count_z
      - .offset:         44
        .size:           2
        .value_kind:     hidden_group_size_x
      - .offset:         46
        .size:           2
        .value_kind:     hidden_group_size_y
      - .offset:         48
        .size:           2
        .value_kind:     hidden_group_size_z
      - .offset:         50
        .size:           2
        .value_kind:     hidden_remainder_x
      - .offset:         52
        .size:           2
        .value_kind:     hidden_remainder_y
      - .offset:         54
        .size:           2
        .value_kind:     hidden_remainder_z
      - .offset:         72
        .size:           8
        .value_kind:     hidden_global_offset_x
      - .offset:         80
        .size:           8
        .value_kind:     hidden_global_offset_y
      - .offset:         88
        .size:           8
        .value_kind:     hidden_global_offset_z
      - .offset:         96
        .size:           2
        .value_kind:     hidden_grid_dims
    .group_segment_fixed_size: 0
    .kernarg_segment_align: 8
    .kernarg_segment_size: 288
    .language:       OpenCL C
    .language_version:
      - 2
      - 0
    .max_flat_workgroup_size: 1024
    .name:           _ZN2at6native12_GLOBAL__N_126krn_partial_to_segment_idxIiEEvPT_PKS3_S6_PKl
    .private_segment_fixed_size: 0
    .sgpr_count:     20
    .sgpr_spill_count: 0
    .symbol:         _ZN2at6native12_GLOBAL__N_126krn_partial_to_segment_idxIiEEvPT_PKS3_S6_PKl.kd
    .uniform_work_group_size: 1
    .uses_dynamic_stack: false
    .vgpr_count:     12
    .vgpr_spill_count: 0
    .wavefront_size: 64
  - .agpr_count:     0
    .args:
      - .address_space:  global
        .offset:         0
        .size:           8
        .value_kind:     global_buffer
      - .address_space:  global
        .offset:         8
        .size:           8
        .value_kind:     global_buffer
      - .address_space:  global
        .offset:         16
        .size:           8
        .value_kind:     global_buffer
      - .offset:         24
        .size:           8
        .value_kind:     by_value
      - .offset:         32
        .size:           8
        .value_kind:     by_value
      - .address_space:  global
        .offset:         40
        .size:           8
        .value_kind:     global_buffer
      - .address_space:  global
        .offset:         48
        .size:           8
        .value_kind:     global_buffer
      - .address_space:  global
        .offset:         56
        .size:           8
        .value_kind:     global_buffer
      - .address_space:  global
        .offset:         64
        .size:           8
        .value_kind:     global_buffer
      - .address_space:  global
        .offset:         72
        .size:           8
        .value_kind:     global_buffer
      - .address_space:  global
        .offset:         80
        .size:           8
        .value_kind:     global_buffer
      - .offset:         88
        .size:           8
        .value_kind:     by_value
      - .offset:         96
        .size:           8
        .value_kind:     by_value
      - .offset:         104
        .size:           4
        .value_kind:     hidden_block_count_x
      - .offset:         108
        .size:           4
        .value_kind:     hidden_block_count_y
      - .offset:         112
        .size:           4
        .value_kind:     hidden_block_count_z
      - .offset:         116
        .size:           2
        .value_kind:     hidden_group_size_x
      - .offset:         118
        .size:           2
        .value_kind:     hidden_group_size_y
      - .offset:         120
        .size:           2
        .value_kind:     hidden_group_size_z
      - .offset:         122
        .size:           2
        .value_kind:     hidden_remainder_x
      - .offset:         124
        .size:           2
        .value_kind:     hidden_remainder_y
      - .offset:         126
        .size:           2
        .value_kind:     hidden_remainder_z
      - .offset:         144
        .size:           8
        .value_kind:     hidden_global_offset_x
      - .offset:         152
        .size:           8
        .value_kind:     hidden_global_offset_y
      - .offset:         160
        .size:           8
        .value_kind:     hidden_global_offset_z
      - .offset:         168
        .size:           2
        .value_kind:     hidden_grid_dims
    .group_segment_fixed_size: 0
    .kernarg_segment_align: 8
    .kernarg_segment_size: 360
    .language:       OpenCL C
    .language_version:
      - 2
      - 0
    .max_flat_workgroup_size: 1024
    .name:           _ZN2at6native12_GLOBAL__N_137compute_grad_weight_atomic_accumulateIddiEEvPKT1_PKT_S5_llS5_PKlS5_S5_S5_PT0_ll
    .private_segment_fixed_size: 0
    .sgpr_count:     36
    .sgpr_spill_count: 0
    .symbol:         _ZN2at6native12_GLOBAL__N_137compute_grad_weight_atomic_accumulateIddiEEvPKT1_PKT_S5_llS5_PKlS5_S5_S5_PT0_ll.kd
    .uniform_work_group_size: 1
    .uses_dynamic_stack: false
    .vgpr_count:     26
    .vgpr_spill_count: 0
    .wavefront_size: 64
  - .agpr_count:     0
    .args:
      - .address_space:  global
        .offset:         0
        .size:           8
        .value_kind:     global_buffer
      - .address_space:  global
        .offset:         8
        .size:           8
        .value_kind:     global_buffer
      - .address_space:  global
        .offset:         16
        .size:           8
        .value_kind:     global_buffer
      - .address_space:  global
        .offset:         24
        .size:           8
        .value_kind:     global_buffer
      - .offset:         32
        .size:           8
        .value_kind:     by_value
      - .offset:         40
        .size:           8
        .value_kind:     by_value
      - .offset:         48
        .size:           4
        .value_kind:     by_value
      - .address_space:  global
        .offset:         56
        .size:           8
        .value_kind:     global_buffer
      - .address_space:  global
        .offset:         64
        .size:           8
        .value_kind:     global_buffer
      - .offset:         72
        .size:           8
        .value_kind:     by_value
      - .address_space:  global
        .offset:         80
        .size:           8
        .value_kind:     global_buffer
      - .address_space:  global
        .offset:         88
        .size:           8
        .value_kind:     global_buffer
      - .address_space:  global
        .offset:         96
        .size:           8
        .value_kind:     global_buffer
      - .offset:         104
        .size:           8
        .value_kind:     by_value
      - .offset:         112
        .size:           4
        .value_kind:     hidden_block_count_x
      - .offset:         116
        .size:           4
        .value_kind:     hidden_block_count_y
      - .offset:         120
        .size:           4
        .value_kind:     hidden_block_count_z
      - .offset:         124
        .size:           2
        .value_kind:     hidden_group_size_x
      - .offset:         126
        .size:           2
        .value_kind:     hidden_group_size_y
      - .offset:         128
        .size:           2
        .value_kind:     hidden_group_size_z
      - .offset:         130
        .size:           2
        .value_kind:     hidden_remainder_x
      - .offset:         132
        .size:           2
        .value_kind:     hidden_remainder_y
      - .offset:         134
        .size:           2
        .value_kind:     hidden_remainder_z
      - .offset:         152
        .size:           8
        .value_kind:     hidden_global_offset_x
      - .offset:         160
        .size:           8
        .value_kind:     hidden_global_offset_y
      - .offset:         168
        .size:           8
        .value_kind:     hidden_global_offset_z
      - .offset:         176
        .size:           2
        .value_kind:     hidden_grid_dims
    .group_segment_fixed_size: 0
    .kernarg_segment_align: 8
    .kernarg_segment_size: 368
    .language:       OpenCL C
    .language_version:
      - 2
      - 0
    .max_flat_workgroup_size: 1024
    .name:           _ZN2at6native12_GLOBAL__N_124compute_grad_weight_bagsIdiEEvPKT0_PKT_S5_S5_lliS5_S8_lS5_PKlPNS_14AccumulateTypeIS6_Lb1EE4typeEl
    .private_segment_fixed_size: 0
    .sgpr_count:     36
    .sgpr_spill_count: 0
    .symbol:         _ZN2at6native12_GLOBAL__N_124compute_grad_weight_bagsIdiEEvPKT0_PKT_S5_S5_lliS5_S8_lS5_PKlPNS_14AccumulateTypeIS6_Lb1EE4typeEl.kd
    .uniform_work_group_size: 1
    .uses_dynamic_stack: false
    .vgpr_count:     30
    .vgpr_spill_count: 0
    .wavefront_size: 64
  - .agpr_count:     0
    .args:
      - .address_space:  global
        .offset:         0
        .size:           8
        .value_kind:     global_buffer
      - .address_space:  global
        .offset:         8
        .size:           8
        .value_kind:     global_buffer
      - .address_space:  global
        .offset:         16
        .size:           8
        .value_kind:     global_buffer
      - .offset:         24
        .size:           8
        .value_kind:     by_value
      - .offset:         32
        .size:           8
        .value_kind:     by_value
      - .address_space:  global
        .offset:         40
        .size:           8
        .value_kind:     global_buffer
      - .address_space:  global
        .offset:         48
        .size:           8
        .value_kind:     global_buffer
      - .address_space:  global
        .offset:         56
        .size:           8
        .value_kind:     global_buffer
      - .offset:         64
        .size:           8
        .value_kind:     by_value
      - .offset:         72
        .size:           4
        .value_kind:     hidden_block_count_x
      - .offset:         76
        .size:           4
        .value_kind:     hidden_block_count_y
      - .offset:         80
        .size:           4
        .value_kind:     hidden_block_count_z
      - .offset:         84
        .size:           2
        .value_kind:     hidden_group_size_x
      - .offset:         86
        .size:           2
        .value_kind:     hidden_group_size_y
      - .offset:         88
        .size:           2
        .value_kind:     hidden_group_size_z
      - .offset:         90
        .size:           2
        .value_kind:     hidden_remainder_x
      - .offset:         92
        .size:           2
        .value_kind:     hidden_remainder_y
      - .offset:         94
        .size:           2
        .value_kind:     hidden_remainder_z
      - .offset:         112
        .size:           8
        .value_kind:     hidden_global_offset_x
      - .offset:         120
        .size:           8
        .value_kind:     hidden_global_offset_y
      - .offset:         128
        .size:           8
        .value_kind:     hidden_global_offset_z
      - .offset:         136
        .size:           2
        .value_kind:     hidden_grid_dims
    .group_segment_fixed_size: 0
    .kernarg_segment_align: 8
    .kernarg_segment_size: 328
    .language:       OpenCL C
    .language_version:
      - 2
      - 0
    .max_flat_workgroup_size: 1024
    .name:           _ZN2at6native12_GLOBAL__N_119compute_grad_weightIdiEEvPKT0_PKT_S5_llS5_PKlPNS_14AccumulateTypeIS6_Lb1EE4typeEl
    .private_segment_fixed_size: 0
    .sgpr_count:     30
    .sgpr_spill_count: 0
    .symbol:         _ZN2at6native12_GLOBAL__N_119compute_grad_weightIdiEEvPKT0_PKT_S5_llS5_PKlPNS_14AccumulateTypeIS6_Lb1EE4typeEl.kd
    .uniform_work_group_size: 1
    .uses_dynamic_stack: false
    .vgpr_count:     26
    .vgpr_spill_count: 0
    .wavefront_size: 64
  - .agpr_count:     0
    .args:
      - .address_space:  global
        .offset:         0
        .size:           8
        .value_kind:     global_buffer
      - .address_space:  global
        .offset:         8
        .size:           8
        .value_kind:     global_buffer
      - .offset:         16
        .size:           8
        .value_kind:     by_value
      - .address_space:  global
        .offset:         24
        .size:           8
        .value_kind:     global_buffer
      - .address_space:  global
        .offset:         32
        .size:           8
        .value_kind:     global_buffer
      - .address_space:  global
        .offset:         40
        .size:           8
        .value_kind:     global_buffer
      - .address_space:  global
        .offset:         48
        .size:           8
        .value_kind:     global_buffer
      - .address_space:  global
        .offset:         56
        .size:           8
        .value_kind:     global_buffer
      - .offset:         64
        .size:           8
        .value_kind:     by_value
      - .offset:         72
        .size:           8
        .value_kind:     by_value
      - .offset:         80
        .size:           4
        .value_kind:     hidden_block_count_x
      - .offset:         84
        .size:           4
        .value_kind:     hidden_block_count_y
      - .offset:         88
        .size:           4
        .value_kind:     hidden_block_count_z
      - .offset:         92
        .size:           2
        .value_kind:     hidden_group_size_x
      - .offset:         94
        .size:           2
        .value_kind:     hidden_group_size_y
      - .offset:         96
        .size:           2
        .value_kind:     hidden_group_size_z
      - .offset:         98
        .size:           2
        .value_kind:     hidden_remainder_x
      - .offset:         100
        .size:           2
        .value_kind:     hidden_remainder_y
      - .offset:         102
        .size:           2
        .value_kind:     hidden_remainder_z
      - .offset:         120
        .size:           8
        .value_kind:     hidden_global_offset_x
      - .offset:         128
        .size:           8
        .value_kind:     hidden_global_offset_y
      - .offset:         136
        .size:           8
        .value_kind:     hidden_global_offset_z
      - .offset:         144
        .size:           2
        .value_kind:     hidden_grid_dims
    .group_segment_fixed_size: 0
    .kernarg_segment_align: 8
    .kernarg_segment_size: 336
    .language:       OpenCL C
    .language_version:
      - 2
      - 0
    .max_flat_workgroup_size: 1024
    .name:           _ZN2at6native12_GLOBAL__N_115sum_and_scatterIdiEEvPKT0_PT_lS5_PKlPKNS_14AccumulateTypeIS6_Lb1EE4typeES5_S9_ll
    .private_segment_fixed_size: 0
    .sgpr_count:     32
    .sgpr_spill_count: 0
    .symbol:         _ZN2at6native12_GLOBAL__N_115sum_and_scatterIdiEEvPKT0_PT_lS5_PKlPKNS_14AccumulateTypeIS6_Lb1EE4typeES5_S9_ll.kd
    .uniform_work_group_size: 1
    .uses_dynamic_stack: false
    .vgpr_count:     14
    .vgpr_spill_count: 0
    .wavefront_size: 64
  - .agpr_count:     0
    .args:
      - .address_space:  global
        .offset:         0
        .size:           8
        .value_kind:     global_buffer
      - .address_space:  global
        .offset:         8
        .size:           8
        .value_kind:     global_buffer
      - .address_space:  global
        .offset:         16
        .size:           8
        .value_kind:     global_buffer
      - .offset:         24
        .size:           8
        .value_kind:     by_value
      - .offset:         32
        .size:           8
        .value_kind:     by_value
      - .address_space:  global
        .offset:         40
        .size:           8
        .value_kind:     global_buffer
      - .address_space:  global
        .offset:         48
        .size:           8
        .value_kind:     global_buffer
      - .address_space:  global
        .offset:         56
        .size:           8
        .value_kind:     global_buffer
      - .address_space:  global
        .offset:         64
        .size:           8
        .value_kind:     global_buffer
      - .address_space:  global
        .offset:         72
        .size:           8
        .value_kind:     global_buffer
      - .address_space:  global
        .offset:         80
        .size:           8
        .value_kind:     global_buffer
      - .offset:         88
        .size:           8
        .value_kind:     by_value
      - .offset:         96
        .size:           8
        .value_kind:     by_value
      - .offset:         104
        .size:           4
        .value_kind:     hidden_block_count_x
      - .offset:         108
        .size:           4
        .value_kind:     hidden_block_count_y
      - .offset:         112
        .size:           4
        .value_kind:     hidden_block_count_z
      - .offset:         116
        .size:           2
        .value_kind:     hidden_group_size_x
      - .offset:         118
        .size:           2
        .value_kind:     hidden_group_size_y
      - .offset:         120
        .size:           2
        .value_kind:     hidden_group_size_z
      - .offset:         122
        .size:           2
        .value_kind:     hidden_remainder_x
      - .offset:         124
        .size:           2
        .value_kind:     hidden_remainder_y
      - .offset:         126
        .size:           2
        .value_kind:     hidden_remainder_z
      - .offset:         144
        .size:           8
        .value_kind:     hidden_global_offset_x
      - .offset:         152
        .size:           8
        .value_kind:     hidden_global_offset_y
      - .offset:         160
        .size:           8
        .value_kind:     hidden_global_offset_z
      - .offset:         168
        .size:           2
        .value_kind:     hidden_grid_dims
    .group_segment_fixed_size: 0
    .kernarg_segment_align: 8
    .kernarg_segment_size: 360
    .language:       OpenCL C
    .language_version:
      - 2
      - 0
    .max_flat_workgroup_size: 1024
    .name:           _ZN2at6native12_GLOBAL__N_137compute_grad_weight_atomic_accumulateIffiEEvPKT1_PKT_S5_llS5_PKlS5_S5_S5_PT0_ll
    .private_segment_fixed_size: 0
    .sgpr_count:     36
    .sgpr_spill_count: 0
    .symbol:         _ZN2at6native12_GLOBAL__N_137compute_grad_weight_atomic_accumulateIffiEEvPKT1_PKT_S5_llS5_PKlS5_S5_S5_PT0_ll.kd
    .uniform_work_group_size: 1
    .uses_dynamic_stack: false
    .vgpr_count:     20
    .vgpr_spill_count: 0
    .wavefront_size: 64
  - .agpr_count:     0
    .args:
      - .address_space:  global
        .offset:         0
        .size:           8
        .value_kind:     global_buffer
      - .address_space:  global
        .offset:         8
        .size:           8
        .value_kind:     global_buffer
      - .address_space:  global
        .offset:         16
        .size:           8
        .value_kind:     global_buffer
      - .address_space:  global
        .offset:         24
        .size:           8
        .value_kind:     global_buffer
      - .offset:         32
        .size:           8
        .value_kind:     by_value
      - .offset:         40
        .size:           8
        .value_kind:     by_value
      - .offset:         48
        .size:           4
        .value_kind:     by_value
      - .address_space:  global
        .offset:         56
        .size:           8
        .value_kind:     global_buffer
      - .address_space:  global
        .offset:         64
        .size:           8
        .value_kind:     global_buffer
      - .offset:         72
        .size:           8
        .value_kind:     by_value
      - .address_space:  global
        .offset:         80
        .size:           8
        .value_kind:     global_buffer
      - .address_space:  global
        .offset:         88
        .size:           8
        .value_kind:     global_buffer
      - .address_space:  global
        .offset:         96
        .size:           8
        .value_kind:     global_buffer
      - .offset:         104
        .size:           8
        .value_kind:     by_value
      - .offset:         112
        .size:           4
        .value_kind:     hidden_block_count_x
      - .offset:         116
        .size:           4
        .value_kind:     hidden_block_count_y
      - .offset:         120
        .size:           4
        .value_kind:     hidden_block_count_z
      - .offset:         124
        .size:           2
        .value_kind:     hidden_group_size_x
      - .offset:         126
        .size:           2
        .value_kind:     hidden_group_size_y
      - .offset:         128
        .size:           2
        .value_kind:     hidden_group_size_z
      - .offset:         130
        .size:           2
        .value_kind:     hidden_remainder_x
      - .offset:         132
        .size:           2
        .value_kind:     hidden_remainder_y
      - .offset:         134
        .size:           2
        .value_kind:     hidden_remainder_z
      - .offset:         152
        .size:           8
        .value_kind:     hidden_global_offset_x
      - .offset:         160
        .size:           8
        .value_kind:     hidden_global_offset_y
      - .offset:         168
        .size:           8
        .value_kind:     hidden_global_offset_z
      - .offset:         176
        .size:           2
        .value_kind:     hidden_grid_dims
    .group_segment_fixed_size: 0
    .kernarg_segment_align: 8
    .kernarg_segment_size: 368
    .language:       OpenCL C
    .language_version:
      - 2
      - 0
    .max_flat_workgroup_size: 1024
    .name:           _ZN2at6native12_GLOBAL__N_124compute_grad_weight_bagsIfiEEvPKT0_PKT_S5_S5_lliS5_S8_lS5_PKlPNS_14AccumulateTypeIS6_Lb1EE4typeEl
    .private_segment_fixed_size: 0
    .sgpr_count:     36
    .sgpr_spill_count: 0
    .symbol:         _ZN2at6native12_GLOBAL__N_124compute_grad_weight_bagsIfiEEvPKT0_PKT_S5_S5_lliS5_S8_lS5_PKlPNS_14AccumulateTypeIS6_Lb1EE4typeEl.kd
    .uniform_work_group_size: 1
    .uses_dynamic_stack: false
    .vgpr_count:     28
    .vgpr_spill_count: 0
    .wavefront_size: 64
  - .agpr_count:     0
    .args:
      - .address_space:  global
        .offset:         0
        .size:           8
        .value_kind:     global_buffer
      - .address_space:  global
        .offset:         8
        .size:           8
        .value_kind:     global_buffer
      - .address_space:  global
        .offset:         16
        .size:           8
        .value_kind:     global_buffer
      - .offset:         24
        .size:           8
        .value_kind:     by_value
      - .offset:         32
        .size:           8
        .value_kind:     by_value
      - .address_space:  global
        .offset:         40
        .size:           8
        .value_kind:     global_buffer
      - .address_space:  global
        .offset:         48
        .size:           8
        .value_kind:     global_buffer
      - .address_space:  global
        .offset:         56
        .size:           8
        .value_kind:     global_buffer
      - .offset:         64
        .size:           8
        .value_kind:     by_value
      - .offset:         72
        .size:           4
        .value_kind:     hidden_block_count_x
      - .offset:         76
        .size:           4
        .value_kind:     hidden_block_count_y
      - .offset:         80
        .size:           4
        .value_kind:     hidden_block_count_z
      - .offset:         84
        .size:           2
        .value_kind:     hidden_group_size_x
      - .offset:         86
        .size:           2
        .value_kind:     hidden_group_size_y
      - .offset:         88
        .size:           2
        .value_kind:     hidden_group_size_z
      - .offset:         90
        .size:           2
        .value_kind:     hidden_remainder_x
      - .offset:         92
        .size:           2
        .value_kind:     hidden_remainder_y
      - .offset:         94
        .size:           2
        .value_kind:     hidden_remainder_z
      - .offset:         112
        .size:           8
        .value_kind:     hidden_global_offset_x
      - .offset:         120
        .size:           8
        .value_kind:     hidden_global_offset_y
      - .offset:         128
        .size:           8
        .value_kind:     hidden_global_offset_z
      - .offset:         136
        .size:           2
        .value_kind:     hidden_grid_dims
    .group_segment_fixed_size: 0
    .kernarg_segment_align: 8
    .kernarg_segment_size: 328
    .language:       OpenCL C
    .language_version:
      - 2
      - 0
    .max_flat_workgroup_size: 1024
    .name:           _ZN2at6native12_GLOBAL__N_119compute_grad_weightIfiEEvPKT0_PKT_S5_llS5_PKlPNS_14AccumulateTypeIS6_Lb1EE4typeEl
    .private_segment_fixed_size: 0
    .sgpr_count:     30
    .sgpr_spill_count: 0
    .symbol:         _ZN2at6native12_GLOBAL__N_119compute_grad_weightIfiEEvPKT0_PKT_S5_llS5_PKlPNS_14AccumulateTypeIS6_Lb1EE4typeEl.kd
    .uniform_work_group_size: 1
    .uses_dynamic_stack: false
    .vgpr_count:     20
    .vgpr_spill_count: 0
    .wavefront_size: 64
  - .agpr_count:     0
    .args:
      - .address_space:  global
        .offset:         0
        .size:           8
        .value_kind:     global_buffer
      - .address_space:  global
        .offset:         8
        .size:           8
        .value_kind:     global_buffer
      - .offset:         16
        .size:           8
        .value_kind:     by_value
      - .address_space:  global
        .offset:         24
        .size:           8
        .value_kind:     global_buffer
      - .address_space:  global
        .offset:         32
        .size:           8
        .value_kind:     global_buffer
      - .address_space:  global
        .offset:         40
        .size:           8
        .value_kind:     global_buffer
      - .address_space:  global
        .offset:         48
        .size:           8
        .value_kind:     global_buffer
      - .address_space:  global
        .offset:         56
        .size:           8
        .value_kind:     global_buffer
      - .offset:         64
        .size:           8
        .value_kind:     by_value
      - .offset:         72
        .size:           8
        .value_kind:     by_value
      - .offset:         80
        .size:           4
        .value_kind:     hidden_block_count_x
      - .offset:         84
        .size:           4
        .value_kind:     hidden_block_count_y
      - .offset:         88
        .size:           4
        .value_kind:     hidden_block_count_z
      - .offset:         92
        .size:           2
        .value_kind:     hidden_group_size_x
      - .offset:         94
        .size:           2
        .value_kind:     hidden_group_size_y
      - .offset:         96
        .size:           2
        .value_kind:     hidden_group_size_z
      - .offset:         98
        .size:           2
        .value_kind:     hidden_remainder_x
      - .offset:         100
        .size:           2
        .value_kind:     hidden_remainder_y
      - .offset:         102
        .size:           2
        .value_kind:     hidden_remainder_z
      - .offset:         120
        .size:           8
        .value_kind:     hidden_global_offset_x
      - .offset:         128
        .size:           8
        .value_kind:     hidden_global_offset_y
      - .offset:         136
        .size:           8
        .value_kind:     hidden_global_offset_z
      - .offset:         144
        .size:           2
        .value_kind:     hidden_grid_dims
    .group_segment_fixed_size: 0
    .kernarg_segment_align: 8
    .kernarg_segment_size: 336
    .language:       OpenCL C
    .language_version:
      - 2
      - 0
    .max_flat_workgroup_size: 1024
    .name:           _ZN2at6native12_GLOBAL__N_115sum_and_scatterIfiEEvPKT0_PT_lS5_PKlPKNS_14AccumulateTypeIS6_Lb1EE4typeES5_S9_ll
    .private_segment_fixed_size: 0
    .sgpr_count:     32
    .sgpr_spill_count: 0
    .symbol:         _ZN2at6native12_GLOBAL__N_115sum_and_scatterIfiEEvPKT0_PT_lS5_PKlPKNS_14AccumulateTypeIS6_Lb1EE4typeES5_S9_ll.kd
    .uniform_work_group_size: 1
    .uses_dynamic_stack: false
    .vgpr_count:     14
    .vgpr_spill_count: 0
    .wavefront_size: 64
  - .agpr_count:     0
    .args:
      - .address_space:  global
        .offset:         0
        .size:           8
        .value_kind:     global_buffer
      - .address_space:  global
        .offset:         8
        .size:           8
        .value_kind:     global_buffer
      - .address_space:  global
        .offset:         16
        .size:           8
        .value_kind:     global_buffer
      - .offset:         24
        .size:           8
        .value_kind:     by_value
      - .offset:         32
        .size:           8
        .value_kind:     by_value
      - .address_space:  global
        .offset:         40
        .size:           8
        .value_kind:     global_buffer
      - .address_space:  global
        .offset:         48
        .size:           8
        .value_kind:     global_buffer
      - .address_space:  global
        .offset:         56
        .size:           8
        .value_kind:     global_buffer
      - .address_space:  global
        .offset:         64
        .size:           8
        .value_kind:     global_buffer
      - .address_space:  global
        .offset:         72
        .size:           8
        .value_kind:     global_buffer
      - .address_space:  global
        .offset:         80
        .size:           8
        .value_kind:     global_buffer
      - .offset:         88
        .size:           8
        .value_kind:     by_value
      - .offset:         96
        .size:           8
        .value_kind:     by_value
      - .offset:         104
        .size:           4
        .value_kind:     hidden_block_count_x
      - .offset:         108
        .size:           4
        .value_kind:     hidden_block_count_y
      - .offset:         112
        .size:           4
        .value_kind:     hidden_block_count_z
      - .offset:         116
        .size:           2
        .value_kind:     hidden_group_size_x
      - .offset:         118
        .size:           2
        .value_kind:     hidden_group_size_y
      - .offset:         120
        .size:           2
        .value_kind:     hidden_group_size_z
      - .offset:         122
        .size:           2
        .value_kind:     hidden_remainder_x
      - .offset:         124
        .size:           2
        .value_kind:     hidden_remainder_y
      - .offset:         126
        .size:           2
        .value_kind:     hidden_remainder_z
      - .offset:         144
        .size:           8
        .value_kind:     hidden_global_offset_x
      - .offset:         152
        .size:           8
        .value_kind:     hidden_global_offset_y
      - .offset:         160
        .size:           8
        .value_kind:     hidden_global_offset_z
      - .offset:         168
        .size:           2
        .value_kind:     hidden_grid_dims
    .group_segment_fixed_size: 0
    .kernarg_segment_align: 8
    .kernarg_segment_size: 360
    .language:       OpenCL C
    .language_version:
      - 2
      - 0
    .max_flat_workgroup_size: 1024
    .name:           _ZN2at6native12_GLOBAL__N_137compute_grad_weight_atomic_accumulateIN3c104HalfEfiEEvPKT1_PKT_S7_llS7_PKlS7_S7_S7_PT0_ll
    .private_segment_fixed_size: 0
    .sgpr_count:     36
    .sgpr_spill_count: 0
    .symbol:         _ZN2at6native12_GLOBAL__N_137compute_grad_weight_atomic_accumulateIN3c104HalfEfiEEvPKT1_PKT_S7_llS7_PKlS7_S7_S7_PT0_ll.kd
    .uniform_work_group_size: 1
    .uses_dynamic_stack: false
    .vgpr_count:     20
    .vgpr_spill_count: 0
    .wavefront_size: 64
  - .agpr_count:     0
    .args:
      - .address_space:  global
        .offset:         0
        .size:           8
        .value_kind:     global_buffer
      - .address_space:  global
        .offset:         8
        .size:           8
        .value_kind:     global_buffer
      - .address_space:  global
        .offset:         16
        .size:           8
        .value_kind:     global_buffer
      - .address_space:  global
        .offset:         24
        .size:           8
        .value_kind:     global_buffer
      - .offset:         32
        .size:           8
        .value_kind:     by_value
      - .offset:         40
        .size:           8
        .value_kind:     by_value
      - .offset:         48
        .size:           4
        .value_kind:     by_value
      - .address_space:  global
        .offset:         56
        .size:           8
        .value_kind:     global_buffer
      - .address_space:  global
        .offset:         64
        .size:           8
        .value_kind:     global_buffer
      - .offset:         72
        .size:           8
        .value_kind:     by_value
      - .address_space:  global
        .offset:         80
        .size:           8
        .value_kind:     global_buffer
      - .address_space:  global
        .offset:         88
        .size:           8
        .value_kind:     global_buffer
      - .address_space:  global
        .offset:         96
        .size:           8
        .value_kind:     global_buffer
      - .offset:         104
        .size:           8
        .value_kind:     by_value
      - .offset:         112
        .size:           4
        .value_kind:     hidden_block_count_x
      - .offset:         116
        .size:           4
        .value_kind:     hidden_block_count_y
      - .offset:         120
        .size:           4
        .value_kind:     hidden_block_count_z
      - .offset:         124
        .size:           2
        .value_kind:     hidden_group_size_x
      - .offset:         126
        .size:           2
        .value_kind:     hidden_group_size_y
      - .offset:         128
        .size:           2
        .value_kind:     hidden_group_size_z
      - .offset:         130
        .size:           2
        .value_kind:     hidden_remainder_x
      - .offset:         132
        .size:           2
        .value_kind:     hidden_remainder_y
      - .offset:         134
        .size:           2
        .value_kind:     hidden_remainder_z
      - .offset:         152
        .size:           8
        .value_kind:     hidden_global_offset_x
      - .offset:         160
        .size:           8
        .value_kind:     hidden_global_offset_y
      - .offset:         168
        .size:           8
        .value_kind:     hidden_global_offset_z
      - .offset:         176
        .size:           2
        .value_kind:     hidden_grid_dims
    .group_segment_fixed_size: 0
    .kernarg_segment_align: 8
    .kernarg_segment_size: 368
    .language:       OpenCL C
    .language_version:
      - 2
      - 0
    .max_flat_workgroup_size: 1024
    .name:           _ZN2at6native12_GLOBAL__N_124compute_grad_weight_bagsIN3c104HalfEiEEvPKT0_PKT_S7_S7_lliS7_SA_lS7_PKlPNS_14AccumulateTypeIS8_Lb1EE4typeEl
    .private_segment_fixed_size: 0
    .sgpr_count:     36
    .sgpr_spill_count: 0
    .symbol:         _ZN2at6native12_GLOBAL__N_124compute_grad_weight_bagsIN3c104HalfEiEEvPKT0_PKT_S7_S7_lliS7_SA_lS7_PKlPNS_14AccumulateTypeIS8_Lb1EE4typeEl.kd
    .uniform_work_group_size: 1
    .uses_dynamic_stack: false
    .vgpr_count:     28
    .vgpr_spill_count: 0
    .wavefront_size: 64
  - .agpr_count:     0
    .args:
      - .address_space:  global
        .offset:         0
        .size:           8
        .value_kind:     global_buffer
      - .address_space:  global
        .offset:         8
        .size:           8
        .value_kind:     global_buffer
      - .address_space:  global
        .offset:         16
        .size:           8
        .value_kind:     global_buffer
      - .offset:         24
        .size:           8
        .value_kind:     by_value
      - .offset:         32
        .size:           8
        .value_kind:     by_value
      - .address_space:  global
        .offset:         40
        .size:           8
        .value_kind:     global_buffer
      - .address_space:  global
        .offset:         48
        .size:           8
        .value_kind:     global_buffer
      - .address_space:  global
        .offset:         56
        .size:           8
        .value_kind:     global_buffer
      - .offset:         64
        .size:           8
        .value_kind:     by_value
      - .offset:         72
        .size:           4
        .value_kind:     hidden_block_count_x
      - .offset:         76
        .size:           4
        .value_kind:     hidden_block_count_y
      - .offset:         80
        .size:           4
        .value_kind:     hidden_block_count_z
      - .offset:         84
        .size:           2
        .value_kind:     hidden_group_size_x
      - .offset:         86
        .size:           2
        .value_kind:     hidden_group_size_y
      - .offset:         88
        .size:           2
        .value_kind:     hidden_group_size_z
      - .offset:         90
        .size:           2
        .value_kind:     hidden_remainder_x
      - .offset:         92
        .size:           2
        .value_kind:     hidden_remainder_y
      - .offset:         94
        .size:           2
        .value_kind:     hidden_remainder_z
      - .offset:         112
        .size:           8
        .value_kind:     hidden_global_offset_x
      - .offset:         120
        .size:           8
        .value_kind:     hidden_global_offset_y
      - .offset:         128
        .size:           8
        .value_kind:     hidden_global_offset_z
      - .offset:         136
        .size:           2
        .value_kind:     hidden_grid_dims
    .group_segment_fixed_size: 0
    .kernarg_segment_align: 8
    .kernarg_segment_size: 328
    .language:       OpenCL C
    .language_version:
      - 2
      - 0
    .max_flat_workgroup_size: 1024
    .name:           _ZN2at6native12_GLOBAL__N_119compute_grad_weightIN3c104HalfEiEEvPKT0_PKT_S7_llS7_PKlPNS_14AccumulateTypeIS8_Lb1EE4typeEl
    .private_segment_fixed_size: 0
    .sgpr_count:     30
    .sgpr_spill_count: 0
    .symbol:         _ZN2at6native12_GLOBAL__N_119compute_grad_weightIN3c104HalfEiEEvPKT0_PKT_S7_llS7_PKlPNS_14AccumulateTypeIS8_Lb1EE4typeEl.kd
    .uniform_work_group_size: 1
    .uses_dynamic_stack: false
    .vgpr_count:     20
    .vgpr_spill_count: 0
    .wavefront_size: 64
  - .agpr_count:     0
    .args:
      - .address_space:  global
        .offset:         0
        .size:           8
        .value_kind:     global_buffer
      - .address_space:  global
        .offset:         8
        .size:           8
        .value_kind:     global_buffer
      - .offset:         16
        .size:           8
        .value_kind:     by_value
      - .address_space:  global
        .offset:         24
        .size:           8
        .value_kind:     global_buffer
      - .address_space:  global
        .offset:         32
        .size:           8
        .value_kind:     global_buffer
      - .address_space:  global
        .offset:         40
        .size:           8
        .value_kind:     global_buffer
      - .address_space:  global
        .offset:         48
        .size:           8
        .value_kind:     global_buffer
      - .address_space:  global
        .offset:         56
        .size:           8
        .value_kind:     global_buffer
      - .offset:         64
        .size:           8
        .value_kind:     by_value
      - .offset:         72
        .size:           8
        .value_kind:     by_value
      - .offset:         80
        .size:           4
        .value_kind:     hidden_block_count_x
      - .offset:         84
        .size:           4
        .value_kind:     hidden_block_count_y
      - .offset:         88
        .size:           4
        .value_kind:     hidden_block_count_z
      - .offset:         92
        .size:           2
        .value_kind:     hidden_group_size_x
      - .offset:         94
        .size:           2
        .value_kind:     hidden_group_size_y
      - .offset:         96
        .size:           2
        .value_kind:     hidden_group_size_z
      - .offset:         98
        .size:           2
        .value_kind:     hidden_remainder_x
      - .offset:         100
        .size:           2
        .value_kind:     hidden_remainder_y
      - .offset:         102
        .size:           2
        .value_kind:     hidden_remainder_z
      - .offset:         120
        .size:           8
        .value_kind:     hidden_global_offset_x
      - .offset:         128
        .size:           8
        .value_kind:     hidden_global_offset_y
      - .offset:         136
        .size:           8
        .value_kind:     hidden_global_offset_z
      - .offset:         144
        .size:           2
        .value_kind:     hidden_grid_dims
    .group_segment_fixed_size: 0
    .kernarg_segment_align: 8
    .kernarg_segment_size: 336
    .language:       OpenCL C
    .language_version:
      - 2
      - 0
    .max_flat_workgroup_size: 1024
    .name:           _ZN2at6native12_GLOBAL__N_115sum_and_scatterIN3c104HalfEiEEvPKT0_PT_lS7_PKlPKNS_14AccumulateTypeIS8_Lb1EE4typeES7_SB_ll
    .private_segment_fixed_size: 0
    .sgpr_count:     32
    .sgpr_spill_count: 0
    .symbol:         _ZN2at6native12_GLOBAL__N_115sum_and_scatterIN3c104HalfEiEEvPKT0_PT_lS7_PKlPKNS_14AccumulateTypeIS8_Lb1EE4typeES7_SB_ll.kd
    .uniform_work_group_size: 1
    .uses_dynamic_stack: false
    .vgpr_count:     14
    .vgpr_spill_count: 0
    .wavefront_size: 64
  - .agpr_count:     0
    .args:
      - .address_space:  global
        .offset:         0
        .size:           8
        .value_kind:     global_buffer
      - .address_space:  global
        .offset:         8
        .size:           8
        .value_kind:     global_buffer
      - .address_space:  global
        .offset:         16
        .size:           8
        .value_kind:     global_buffer
      - .offset:         24
        .size:           8
        .value_kind:     by_value
      - .offset:         32
        .size:           8
        .value_kind:     by_value
      - .address_space:  global
        .offset:         40
        .size:           8
        .value_kind:     global_buffer
      - .address_space:  global
        .offset:         48
        .size:           8
        .value_kind:     global_buffer
      - .address_space:  global
        .offset:         56
        .size:           8
        .value_kind:     global_buffer
      - .address_space:  global
        .offset:         64
        .size:           8
        .value_kind:     global_buffer
      - .address_space:  global
        .offset:         72
        .size:           8
        .value_kind:     global_buffer
      - .address_space:  global
        .offset:         80
        .size:           8
        .value_kind:     global_buffer
      - .offset:         88
        .size:           8
        .value_kind:     by_value
      - .offset:         96
        .size:           8
        .value_kind:     by_value
      - .offset:         104
        .size:           4
        .value_kind:     hidden_block_count_x
      - .offset:         108
        .size:           4
        .value_kind:     hidden_block_count_y
      - .offset:         112
        .size:           4
        .value_kind:     hidden_block_count_z
      - .offset:         116
        .size:           2
        .value_kind:     hidden_group_size_x
      - .offset:         118
        .size:           2
        .value_kind:     hidden_group_size_y
      - .offset:         120
        .size:           2
        .value_kind:     hidden_group_size_z
      - .offset:         122
        .size:           2
        .value_kind:     hidden_remainder_x
      - .offset:         124
        .size:           2
        .value_kind:     hidden_remainder_y
      - .offset:         126
        .size:           2
        .value_kind:     hidden_remainder_z
      - .offset:         144
        .size:           8
        .value_kind:     hidden_global_offset_x
      - .offset:         152
        .size:           8
        .value_kind:     hidden_global_offset_y
      - .offset:         160
        .size:           8
        .value_kind:     hidden_global_offset_z
      - .offset:         168
        .size:           2
        .value_kind:     hidden_grid_dims
    .group_segment_fixed_size: 0
    .kernarg_segment_align: 8
    .kernarg_segment_size: 360
    .language:       OpenCL C
    .language_version:
      - 2
      - 0
    .max_flat_workgroup_size: 1024
    .name:           _ZN2at6native12_GLOBAL__N_137compute_grad_weight_atomic_accumulateIN3c108BFloat16EfiEEvPKT1_PKT_S7_llS7_PKlS7_S7_S7_PT0_ll
    .private_segment_fixed_size: 0
    .sgpr_count:     36
    .sgpr_spill_count: 0
    .symbol:         _ZN2at6native12_GLOBAL__N_137compute_grad_weight_atomic_accumulateIN3c108BFloat16EfiEEvPKT1_PKT_S7_llS7_PKlS7_S7_S7_PT0_ll.kd
    .uniform_work_group_size: 1
    .uses_dynamic_stack: false
    .vgpr_count:     20
    .vgpr_spill_count: 0
    .wavefront_size: 64
  - .agpr_count:     0
    .args:
      - .address_space:  global
        .offset:         0
        .size:           8
        .value_kind:     global_buffer
      - .address_space:  global
        .offset:         8
        .size:           8
        .value_kind:     global_buffer
      - .address_space:  global
        .offset:         16
        .size:           8
        .value_kind:     global_buffer
      - .address_space:  global
        .offset:         24
        .size:           8
        .value_kind:     global_buffer
      - .offset:         32
        .size:           8
        .value_kind:     by_value
      - .offset:         40
        .size:           8
        .value_kind:     by_value
      - .offset:         48
        .size:           4
        .value_kind:     by_value
      - .address_space:  global
        .offset:         56
        .size:           8
        .value_kind:     global_buffer
      - .address_space:  global
        .offset:         64
        .size:           8
        .value_kind:     global_buffer
      - .offset:         72
        .size:           8
        .value_kind:     by_value
      - .address_space:  global
        .offset:         80
        .size:           8
        .value_kind:     global_buffer
      - .address_space:  global
        .offset:         88
        .size:           8
        .value_kind:     global_buffer
      - .address_space:  global
        .offset:         96
        .size:           8
        .value_kind:     global_buffer
      - .offset:         104
        .size:           8
        .value_kind:     by_value
      - .offset:         112
        .size:           4
        .value_kind:     hidden_block_count_x
      - .offset:         116
        .size:           4
        .value_kind:     hidden_block_count_y
      - .offset:         120
        .size:           4
        .value_kind:     hidden_block_count_z
      - .offset:         124
        .size:           2
        .value_kind:     hidden_group_size_x
      - .offset:         126
        .size:           2
        .value_kind:     hidden_group_size_y
      - .offset:         128
        .size:           2
        .value_kind:     hidden_group_size_z
      - .offset:         130
        .size:           2
        .value_kind:     hidden_remainder_x
      - .offset:         132
        .size:           2
        .value_kind:     hidden_remainder_y
      - .offset:         134
        .size:           2
        .value_kind:     hidden_remainder_z
      - .offset:         152
        .size:           8
        .value_kind:     hidden_global_offset_x
      - .offset:         160
        .size:           8
        .value_kind:     hidden_global_offset_y
      - .offset:         168
        .size:           8
        .value_kind:     hidden_global_offset_z
      - .offset:         176
        .size:           2
        .value_kind:     hidden_grid_dims
    .group_segment_fixed_size: 0
    .kernarg_segment_align: 8
    .kernarg_segment_size: 368
    .language:       OpenCL C
    .language_version:
      - 2
      - 0
    .max_flat_workgroup_size: 1024
    .name:           _ZN2at6native12_GLOBAL__N_124compute_grad_weight_bagsIN3c108BFloat16EiEEvPKT0_PKT_S7_S7_lliS7_SA_lS7_PKlPNS_14AccumulateTypeIS8_Lb1EE4typeEl
    .private_segment_fixed_size: 0
    .sgpr_count:     36
    .sgpr_spill_count: 0
    .symbol:         _ZN2at6native12_GLOBAL__N_124compute_grad_weight_bagsIN3c108BFloat16EiEEvPKT0_PKT_S7_S7_lliS7_SA_lS7_PKlPNS_14AccumulateTypeIS8_Lb1EE4typeEl.kd
    .uniform_work_group_size: 1
    .uses_dynamic_stack: false
    .vgpr_count:     28
    .vgpr_spill_count: 0
    .wavefront_size: 64
  - .agpr_count:     0
    .args:
      - .address_space:  global
        .offset:         0
        .size:           8
        .value_kind:     global_buffer
      - .address_space:  global
        .offset:         8
        .size:           8
        .value_kind:     global_buffer
      - .address_space:  global
        .offset:         16
        .size:           8
        .value_kind:     global_buffer
      - .offset:         24
        .size:           8
        .value_kind:     by_value
      - .offset:         32
        .size:           8
        .value_kind:     by_value
      - .address_space:  global
        .offset:         40
        .size:           8
        .value_kind:     global_buffer
      - .address_space:  global
        .offset:         48
        .size:           8
        .value_kind:     global_buffer
      - .address_space:  global
        .offset:         56
        .size:           8
        .value_kind:     global_buffer
      - .offset:         64
        .size:           8
        .value_kind:     by_value
      - .offset:         72
        .size:           4
        .value_kind:     hidden_block_count_x
      - .offset:         76
        .size:           4
        .value_kind:     hidden_block_count_y
      - .offset:         80
        .size:           4
        .value_kind:     hidden_block_count_z
      - .offset:         84
        .size:           2
        .value_kind:     hidden_group_size_x
      - .offset:         86
        .size:           2
        .value_kind:     hidden_group_size_y
      - .offset:         88
        .size:           2
        .value_kind:     hidden_group_size_z
      - .offset:         90
        .size:           2
        .value_kind:     hidden_remainder_x
      - .offset:         92
        .size:           2
        .value_kind:     hidden_remainder_y
      - .offset:         94
        .size:           2
        .value_kind:     hidden_remainder_z
      - .offset:         112
        .size:           8
        .value_kind:     hidden_global_offset_x
      - .offset:         120
        .size:           8
        .value_kind:     hidden_global_offset_y
      - .offset:         128
        .size:           8
        .value_kind:     hidden_global_offset_z
      - .offset:         136
        .size:           2
        .value_kind:     hidden_grid_dims
    .group_segment_fixed_size: 0
    .kernarg_segment_align: 8
    .kernarg_segment_size: 328
    .language:       OpenCL C
    .language_version:
      - 2
      - 0
    .max_flat_workgroup_size: 1024
    .name:           _ZN2at6native12_GLOBAL__N_119compute_grad_weightIN3c108BFloat16EiEEvPKT0_PKT_S7_llS7_PKlPNS_14AccumulateTypeIS8_Lb1EE4typeEl
    .private_segment_fixed_size: 0
    .sgpr_count:     30
    .sgpr_spill_count: 0
    .symbol:         _ZN2at6native12_GLOBAL__N_119compute_grad_weightIN3c108BFloat16EiEEvPKT0_PKT_S7_llS7_PKlPNS_14AccumulateTypeIS8_Lb1EE4typeEl.kd
    .uniform_work_group_size: 1
    .uses_dynamic_stack: false
    .vgpr_count:     20
    .vgpr_spill_count: 0
    .wavefront_size: 64
  - .agpr_count:     0
    .args:
      - .address_space:  global
        .offset:         0
        .size:           8
        .value_kind:     global_buffer
      - .address_space:  global
        .offset:         8
        .size:           8
        .value_kind:     global_buffer
      - .offset:         16
        .size:           8
        .value_kind:     by_value
      - .address_space:  global
        .offset:         24
        .size:           8
        .value_kind:     global_buffer
      - .address_space:  global
        .offset:         32
        .size:           8
        .value_kind:     global_buffer
      - .address_space:  global
        .offset:         40
        .size:           8
        .value_kind:     global_buffer
      - .address_space:  global
        .offset:         48
        .size:           8
        .value_kind:     global_buffer
      - .address_space:  global
        .offset:         56
        .size:           8
        .value_kind:     global_buffer
      - .offset:         64
        .size:           8
        .value_kind:     by_value
      - .offset:         72
        .size:           8
        .value_kind:     by_value
      - .offset:         80
        .size:           4
        .value_kind:     hidden_block_count_x
      - .offset:         84
        .size:           4
        .value_kind:     hidden_block_count_y
      - .offset:         88
        .size:           4
        .value_kind:     hidden_block_count_z
      - .offset:         92
        .size:           2
        .value_kind:     hidden_group_size_x
      - .offset:         94
        .size:           2
        .value_kind:     hidden_group_size_y
      - .offset:         96
        .size:           2
        .value_kind:     hidden_group_size_z
      - .offset:         98
        .size:           2
        .value_kind:     hidden_remainder_x
      - .offset:         100
        .size:           2
        .value_kind:     hidden_remainder_y
      - .offset:         102
        .size:           2
        .value_kind:     hidden_remainder_z
      - .offset:         120
        .size:           8
        .value_kind:     hidden_global_offset_x
      - .offset:         128
        .size:           8
        .value_kind:     hidden_global_offset_y
      - .offset:         136
        .size:           8
        .value_kind:     hidden_global_offset_z
      - .offset:         144
        .size:           2
        .value_kind:     hidden_grid_dims
    .group_segment_fixed_size: 0
    .kernarg_segment_align: 8
    .kernarg_segment_size: 336
    .language:       OpenCL C
    .language_version:
      - 2
      - 0
    .max_flat_workgroup_size: 1024
    .name:           _ZN2at6native12_GLOBAL__N_115sum_and_scatterIN3c108BFloat16EiEEvPKT0_PT_lS7_PKlPKNS_14AccumulateTypeIS8_Lb1EE4typeES7_SB_ll
    .private_segment_fixed_size: 0
    .sgpr_count:     32
    .sgpr_spill_count: 0
    .symbol:         _ZN2at6native12_GLOBAL__N_115sum_and_scatterIN3c108BFloat16EiEEvPKT0_PT_lS7_PKlPKNS_14AccumulateTypeIS8_Lb1EE4typeES7_SB_ll.kd
    .uniform_work_group_size: 1
    .uses_dynamic_stack: false
    .vgpr_count:     14
    .vgpr_spill_count: 0
    .wavefront_size: 64
  - .agpr_count:     0
    .args:
      - .address_space:  global
        .offset:         0
        .size:           8
        .value_kind:     global_buffer
      - .address_space:  global
        .offset:         8
        .size:           8
        .value_kind:     global_buffer
      - .address_space:  global
        .offset:         16
        .size:           8
        .value_kind:     global_buffer
      - .offset:         24
        .size:           8
        .value_kind:     by_value
      - .offset:         32
        .size:           4
        .value_kind:     hidden_block_count_x
      - .offset:         36
        .size:           4
        .value_kind:     hidden_block_count_y
      - .offset:         40
        .size:           4
        .value_kind:     hidden_block_count_z
      - .offset:         44
        .size:           2
        .value_kind:     hidden_group_size_x
      - .offset:         46
        .size:           2
        .value_kind:     hidden_group_size_y
      - .offset:         48
        .size:           2
        .value_kind:     hidden_group_size_z
      - .offset:         50
        .size:           2
        .value_kind:     hidden_remainder_x
      - .offset:         52
        .size:           2
        .value_kind:     hidden_remainder_y
      - .offset:         54
        .size:           2
        .value_kind:     hidden_remainder_z
      - .offset:         72
        .size:           8
        .value_kind:     hidden_global_offset_x
      - .offset:         80
        .size:           8
        .value_kind:     hidden_global_offset_y
      - .offset:         88
        .size:           8
        .value_kind:     hidden_global_offset_z
      - .offset:         96
        .size:           2
        .value_kind:     hidden_grid_dims
    .group_segment_fixed_size: 0
    .kernarg_segment_align: 8
    .kernarg_segment_size: 288
    .language:       OpenCL C
    .language_version:
      - 2
      - 0
    .max_flat_workgroup_size: 1024
    .name:           _ZN2at6native12_GLOBAL__N_124krn_partials_per_segmentIlEEvPT_PKS3_PKll
    .private_segment_fixed_size: 0
    .sgpr_count:     20
    .sgpr_spill_count: 0
    .symbol:         _ZN2at6native12_GLOBAL__N_124krn_partials_per_segmentIlEEvPT_PKS3_PKll.kd
    .uniform_work_group_size: 1
    .uses_dynamic_stack: false
    .vgpr_count:     12
    .vgpr_spill_count: 0
    .wavefront_size: 64
  - .agpr_count:     0
    .args:
      - .address_space:  global
        .offset:         0
        .size:           8
        .value_kind:     global_buffer
      - .address_space:  global
        .offset:         8
        .size:           8
        .value_kind:     global_buffer
      - .address_space:  global
        .offset:         16
        .size:           8
        .value_kind:     global_buffer
      - .address_space:  global
        .offset:         24
        .size:           8
        .value_kind:     global_buffer
    .group_segment_fixed_size: 0
    .kernarg_segment_align: 8
    .kernarg_segment_size: 32
    .language:       OpenCL C
    .language_version:
      - 2
      - 0
    .max_flat_workgroup_size: 1024
    .name:           _ZN2at6native12_GLOBAL__N_131compute_num_of_partial_segmentsIlEEvPKT_S5_PKlPl
    .private_segment_fixed_size: 0
    .sgpr_count:     12
    .sgpr_spill_count: 0
    .symbol:         _ZN2at6native12_GLOBAL__N_131compute_num_of_partial_segmentsIlEEvPKT_S5_PKlPl.kd
    .uniform_work_group_size: 1
    .uses_dynamic_stack: false
    .vgpr_count:     3
    .vgpr_spill_count: 0
    .wavefront_size: 64
  - .agpr_count:     0
    .args:
      - .address_space:  global
        .offset:         0
        .size:           8
        .value_kind:     global_buffer
      - .address_space:  global
        .offset:         8
        .size:           8
        .value_kind:     global_buffer
      - .address_space:  global
        .offset:         16
        .size:           8
        .value_kind:     global_buffer
      - .address_space:  global
        .offset:         24
        .size:           8
        .value_kind:     global_buffer
      - .address_space:  global
        .offset:         32
        .size:           8
        .value_kind:     global_buffer
      - .offset:         40
        .size:           4
        .value_kind:     hidden_block_count_x
      - .offset:         44
        .size:           4
        .value_kind:     hidden_block_count_y
      - .offset:         48
        .size:           4
        .value_kind:     hidden_block_count_z
      - .offset:         52
        .size:           2
        .value_kind:     hidden_group_size_x
      - .offset:         54
        .size:           2
        .value_kind:     hidden_group_size_y
      - .offset:         56
        .size:           2
        .value_kind:     hidden_group_size_z
      - .offset:         58
        .size:           2
        .value_kind:     hidden_remainder_x
      - .offset:         60
        .size:           2
        .value_kind:     hidden_remainder_y
      - .offset:         62
        .size:           2
        .value_kind:     hidden_remainder_z
      - .offset:         80
        .size:           8
        .value_kind:     hidden_global_offset_x
      - .offset:         88
        .size:           8
        .value_kind:     hidden_global_offset_y
      - .offset:         96
        .size:           8
        .value_kind:     hidden_global_offset_z
      - .offset:         104
        .size:           2
        .value_kind:     hidden_grid_dims
    .group_segment_fixed_size: 0
    .kernarg_segment_align: 8
    .kernarg_segment_size: 296
    .language:       OpenCL C
    .language_version:
      - 2
      - 0
    .max_flat_workgroup_size: 1024
    .name:           _ZN2at6native12_GLOBAL__N_126krn_partial_segment_offsetIlEEvPT_PKS3_S6_S6_PKl
    .private_segment_fixed_size: 0
    .sgpr_count:     12
    .sgpr_spill_count: 0
    .symbol:         _ZN2at6native12_GLOBAL__N_126krn_partial_segment_offsetIlEEvPT_PKS3_S6_S6_PKl.kd
    .uniform_work_group_size: 1
    .uses_dynamic_stack: false
    .vgpr_count:     7
    .vgpr_spill_count: 0
    .wavefront_size: 64
  - .agpr_count:     0
    .args:
      - .address_space:  global
        .offset:         0
        .size:           8
        .value_kind:     global_buffer
      - .address_space:  global
        .offset:         8
        .size:           8
        .value_kind:     global_buffer
      - .address_space:  global
        .offset:         16
        .size:           8
        .value_kind:     global_buffer
      - .address_space:  global
        .offset:         24
        .size:           8
        .value_kind:     global_buffer
      - .offset:         32
        .size:           4
        .value_kind:     hidden_block_count_x
      - .offset:         36
        .size:           4
        .value_kind:     hidden_block_count_y
      - .offset:         40
        .size:           4
        .value_kind:     hidden_block_count_z
      - .offset:         44
        .size:           2
        .value_kind:     hidden_group_size_x
      - .offset:         46
        .size:           2
        .value_kind:     hidden_group_size_y
      - .offset:         48
        .size:           2
        .value_kind:     hidden_group_size_z
      - .offset:         50
        .size:           2
        .value_kind:     hidden_remainder_x
      - .offset:         52
        .size:           2
        .value_kind:     hidden_remainder_y
      - .offset:         54
        .size:           2
        .value_kind:     hidden_remainder_z
      - .offset:         72
        .size:           8
        .value_kind:     hidden_global_offset_x
      - .offset:         80
        .size:           8
        .value_kind:     hidden_global_offset_y
      - .offset:         88
        .size:           8
        .value_kind:     hidden_global_offset_z
      - .offset:         96
        .size:           2
        .value_kind:     hidden_grid_dims
    .group_segment_fixed_size: 0
    .kernarg_segment_align: 8
    .kernarg_segment_size: 288
    .language:       OpenCL C
    .language_version:
      - 2
      - 0
    .max_flat_workgroup_size: 1024
    .name:           _ZN2at6native12_GLOBAL__N_126krn_partial_to_segment_idxIlEEvPT_PKS3_S6_PKl
    .private_segment_fixed_size: 0
    .sgpr_count:     20
    .sgpr_spill_count: 0
    .symbol:         _ZN2at6native12_GLOBAL__N_126krn_partial_to_segment_idxIlEEvPT_PKS3_S6_PKl.kd
    .uniform_work_group_size: 1
    .uses_dynamic_stack: false
    .vgpr_count:     7
    .vgpr_spill_count: 0
    .wavefront_size: 64
  - .agpr_count:     0
    .args:
      - .address_space:  global
        .offset:         0
        .size:           8
        .value_kind:     global_buffer
      - .address_space:  global
        .offset:         8
        .size:           8
        .value_kind:     global_buffer
      - .address_space:  global
        .offset:         16
        .size:           8
        .value_kind:     global_buffer
      - .offset:         24
        .size:           8
        .value_kind:     by_value
      - .offset:         32
        .size:           8
        .value_kind:     by_value
      - .address_space:  global
        .offset:         40
        .size:           8
        .value_kind:     global_buffer
      - .address_space:  global
        .offset:         48
        .size:           8
        .value_kind:     global_buffer
      - .address_space:  global
        .offset:         56
        .size:           8
        .value_kind:     global_buffer
      - .address_space:  global
        .offset:         64
        .size:           8
        .value_kind:     global_buffer
      - .address_space:  global
        .offset:         72
        .size:           8
        .value_kind:     global_buffer
      - .address_space:  global
        .offset:         80
        .size:           8
        .value_kind:     global_buffer
      - .offset:         88
        .size:           8
        .value_kind:     by_value
      - .offset:         96
        .size:           8
        .value_kind:     by_value
      - .offset:         104
        .size:           4
        .value_kind:     hidden_block_count_x
      - .offset:         108
        .size:           4
        .value_kind:     hidden_block_count_y
      - .offset:         112
        .size:           4
        .value_kind:     hidden_block_count_z
      - .offset:         116
        .size:           2
        .value_kind:     hidden_group_size_x
      - .offset:         118
        .size:           2
        .value_kind:     hidden_group_size_y
      - .offset:         120
        .size:           2
        .value_kind:     hidden_group_size_z
      - .offset:         122
        .size:           2
        .value_kind:     hidden_remainder_x
      - .offset:         124
        .size:           2
        .value_kind:     hidden_remainder_y
      - .offset:         126
        .size:           2
        .value_kind:     hidden_remainder_z
      - .offset:         144
        .size:           8
        .value_kind:     hidden_global_offset_x
      - .offset:         152
        .size:           8
        .value_kind:     hidden_global_offset_y
      - .offset:         160
        .size:           8
        .value_kind:     hidden_global_offset_z
      - .offset:         168
        .size:           2
        .value_kind:     hidden_grid_dims
    .group_segment_fixed_size: 0
    .kernarg_segment_align: 8
    .kernarg_segment_size: 360
    .language:       OpenCL C
    .language_version:
      - 2
      - 0
    .max_flat_workgroup_size: 1024
    .name:           _ZN2at6native12_GLOBAL__N_137compute_grad_weight_atomic_accumulateIddlEEvPKT1_PKT_S5_llS5_PKlS5_S5_S5_PT0_ll
    .private_segment_fixed_size: 0
    .sgpr_count:     36
    .sgpr_spill_count: 0
    .symbol:         _ZN2at6native12_GLOBAL__N_137compute_grad_weight_atomic_accumulateIddlEEvPKT1_PKT_S5_llS5_PKlS5_S5_S5_PT0_ll.kd
    .uniform_work_group_size: 1
    .uses_dynamic_stack: false
    .vgpr_count:     28
    .vgpr_spill_count: 0
    .wavefront_size: 64
  - .agpr_count:     0
    .args:
      - .address_space:  global
        .offset:         0
        .size:           8
        .value_kind:     global_buffer
      - .address_space:  global
        .offset:         8
        .size:           8
        .value_kind:     global_buffer
      - .address_space:  global
        .offset:         16
        .size:           8
        .value_kind:     global_buffer
      - .address_space:  global
        .offset:         24
        .size:           8
        .value_kind:     global_buffer
      - .offset:         32
        .size:           8
        .value_kind:     by_value
      - .offset:         40
        .size:           8
        .value_kind:     by_value
      - .offset:         48
        .size:           4
        .value_kind:     by_value
      - .address_space:  global
        .offset:         56
        .size:           8
        .value_kind:     global_buffer
      - .address_space:  global
        .offset:         64
        .size:           8
        .value_kind:     global_buffer
      - .offset:         72
        .size:           8
        .value_kind:     by_value
      - .address_space:  global
        .offset:         80
        .size:           8
        .value_kind:     global_buffer
      - .address_space:  global
        .offset:         88
        .size:           8
        .value_kind:     global_buffer
      - .address_space:  global
        .offset:         96
        .size:           8
        .value_kind:     global_buffer
      - .offset:         104
        .size:           8
        .value_kind:     by_value
      - .offset:         112
        .size:           4
        .value_kind:     hidden_block_count_x
      - .offset:         116
        .size:           4
        .value_kind:     hidden_block_count_y
      - .offset:         120
        .size:           4
        .value_kind:     hidden_block_count_z
      - .offset:         124
        .size:           2
        .value_kind:     hidden_group_size_x
      - .offset:         126
        .size:           2
        .value_kind:     hidden_group_size_y
      - .offset:         128
        .size:           2
        .value_kind:     hidden_group_size_z
      - .offset:         130
        .size:           2
        .value_kind:     hidden_remainder_x
      - .offset:         132
        .size:           2
        .value_kind:     hidden_remainder_y
      - .offset:         134
        .size:           2
        .value_kind:     hidden_remainder_z
      - .offset:         152
        .size:           8
        .value_kind:     hidden_global_offset_x
      - .offset:         160
        .size:           8
        .value_kind:     hidden_global_offset_y
      - .offset:         168
        .size:           8
        .value_kind:     hidden_global_offset_z
      - .offset:         176
        .size:           2
        .value_kind:     hidden_grid_dims
    .group_segment_fixed_size: 0
    .kernarg_segment_align: 8
    .kernarg_segment_size: 368
    .language:       OpenCL C
    .language_version:
      - 2
      - 0
    .max_flat_workgroup_size: 1024
    .name:           _ZN2at6native12_GLOBAL__N_124compute_grad_weight_bagsIdlEEvPKT0_PKT_S5_S5_lliS5_S8_lS5_PKlPNS_14AccumulateTypeIS6_Lb1EE4typeEl
    .private_segment_fixed_size: 0
    .sgpr_count:     36
    .sgpr_spill_count: 0
    .symbol:         _ZN2at6native12_GLOBAL__N_124compute_grad_weight_bagsIdlEEvPKT0_PKT_S5_S5_lliS5_S8_lS5_PKlPNS_14AccumulateTypeIS6_Lb1EE4typeEl.kd
    .uniform_work_group_size: 1
    .uses_dynamic_stack: false
    .vgpr_count:     32
    .vgpr_spill_count: 0
    .wavefront_size: 64
  - .agpr_count:     0
    .args:
      - .address_space:  global
        .offset:         0
        .size:           8
        .value_kind:     global_buffer
      - .address_space:  global
        .offset:         8
        .size:           8
        .value_kind:     global_buffer
      - .address_space:  global
        .offset:         16
        .size:           8
        .value_kind:     global_buffer
      - .offset:         24
        .size:           8
        .value_kind:     by_value
      - .offset:         32
        .size:           8
        .value_kind:     by_value
      - .address_space:  global
        .offset:         40
        .size:           8
        .value_kind:     global_buffer
      - .address_space:  global
        .offset:         48
        .size:           8
        .value_kind:     global_buffer
      - .address_space:  global
        .offset:         56
        .size:           8
        .value_kind:     global_buffer
      - .offset:         64
        .size:           8
        .value_kind:     by_value
      - .offset:         72
        .size:           4
        .value_kind:     hidden_block_count_x
      - .offset:         76
        .size:           4
        .value_kind:     hidden_block_count_y
      - .offset:         80
        .size:           4
        .value_kind:     hidden_block_count_z
      - .offset:         84
        .size:           2
        .value_kind:     hidden_group_size_x
      - .offset:         86
        .size:           2
        .value_kind:     hidden_group_size_y
      - .offset:         88
        .size:           2
        .value_kind:     hidden_group_size_z
      - .offset:         90
        .size:           2
        .value_kind:     hidden_remainder_x
      - .offset:         92
        .size:           2
        .value_kind:     hidden_remainder_y
      - .offset:         94
        .size:           2
        .value_kind:     hidden_remainder_z
      - .offset:         112
        .size:           8
        .value_kind:     hidden_global_offset_x
      - .offset:         120
        .size:           8
        .value_kind:     hidden_global_offset_y
      - .offset:         128
        .size:           8
        .value_kind:     hidden_global_offset_z
      - .offset:         136
        .size:           2
        .value_kind:     hidden_grid_dims
    .group_segment_fixed_size: 0
    .kernarg_segment_align: 8
    .kernarg_segment_size: 328
    .language:       OpenCL C
    .language_version:
      - 2
      - 0
    .max_flat_workgroup_size: 1024
    .name:           _ZN2at6native12_GLOBAL__N_119compute_grad_weightIdlEEvPKT0_PKT_S5_llS5_PKlPNS_14AccumulateTypeIS6_Lb1EE4typeEl
    .private_segment_fixed_size: 0
    .sgpr_count:     30
    .sgpr_spill_count: 0
    .symbol:         _ZN2at6native12_GLOBAL__N_119compute_grad_weightIdlEEvPKT0_PKT_S5_llS5_PKlPNS_14AccumulateTypeIS6_Lb1EE4typeEl.kd
    .uniform_work_group_size: 1
    .uses_dynamic_stack: false
    .vgpr_count:     28
    .vgpr_spill_count: 0
    .wavefront_size: 64
  - .agpr_count:     0
    .args:
      - .address_space:  global
        .offset:         0
        .size:           8
        .value_kind:     global_buffer
      - .address_space:  global
        .offset:         8
        .size:           8
        .value_kind:     global_buffer
      - .offset:         16
        .size:           8
        .value_kind:     by_value
      - .address_space:  global
        .offset:         24
        .size:           8
        .value_kind:     global_buffer
      - .address_space:  global
        .offset:         32
        .size:           8
        .value_kind:     global_buffer
      - .address_space:  global
        .offset:         40
        .size:           8
        .value_kind:     global_buffer
      - .address_space:  global
        .offset:         48
        .size:           8
        .value_kind:     global_buffer
      - .address_space:  global
        .offset:         56
        .size:           8
        .value_kind:     global_buffer
      - .offset:         64
        .size:           8
        .value_kind:     by_value
      - .offset:         72
        .size:           8
        .value_kind:     by_value
      - .offset:         80
        .size:           4
        .value_kind:     hidden_block_count_x
      - .offset:         84
        .size:           4
        .value_kind:     hidden_block_count_y
      - .offset:         88
        .size:           4
        .value_kind:     hidden_block_count_z
      - .offset:         92
        .size:           2
        .value_kind:     hidden_group_size_x
      - .offset:         94
        .size:           2
        .value_kind:     hidden_group_size_y
      - .offset:         96
        .size:           2
        .value_kind:     hidden_group_size_z
      - .offset:         98
        .size:           2
        .value_kind:     hidden_remainder_x
      - .offset:         100
        .size:           2
        .value_kind:     hidden_remainder_y
      - .offset:         102
        .size:           2
        .value_kind:     hidden_remainder_z
      - .offset:         120
        .size:           8
        .value_kind:     hidden_global_offset_x
      - .offset:         128
        .size:           8
        .value_kind:     hidden_global_offset_y
      - .offset:         136
        .size:           8
        .value_kind:     hidden_global_offset_z
      - .offset:         144
        .size:           2
        .value_kind:     hidden_grid_dims
    .group_segment_fixed_size: 0
    .kernarg_segment_align: 8
    .kernarg_segment_size: 336
    .language:       OpenCL C
    .language_version:
      - 2
      - 0
    .max_flat_workgroup_size: 1024
    .name:           _ZN2at6native12_GLOBAL__N_115sum_and_scatterIdlEEvPKT0_PT_lS5_PKlPKNS_14AccumulateTypeIS6_Lb1EE4typeES5_S9_ll
    .private_segment_fixed_size: 0
    .sgpr_count:     32
    .sgpr_spill_count: 0
    .symbol:         _ZN2at6native12_GLOBAL__N_115sum_and_scatterIdlEEvPKT0_PT_lS5_PKlPKNS_14AccumulateTypeIS6_Lb1EE4typeES5_S9_ll.kd
    .uniform_work_group_size: 1
    .uses_dynamic_stack: false
    .vgpr_count:     14
    .vgpr_spill_count: 0
    .wavefront_size: 64
  - .agpr_count:     0
    .args:
      - .address_space:  global
        .offset:         0
        .size:           8
        .value_kind:     global_buffer
      - .address_space:  global
        .offset:         8
        .size:           8
        .value_kind:     global_buffer
      - .address_space:  global
        .offset:         16
        .size:           8
        .value_kind:     global_buffer
      - .offset:         24
        .size:           8
        .value_kind:     by_value
      - .offset:         32
        .size:           8
        .value_kind:     by_value
      - .address_space:  global
        .offset:         40
        .size:           8
        .value_kind:     global_buffer
      - .address_space:  global
        .offset:         48
        .size:           8
        .value_kind:     global_buffer
      - .address_space:  global
        .offset:         56
        .size:           8
        .value_kind:     global_buffer
      - .address_space:  global
        .offset:         64
        .size:           8
        .value_kind:     global_buffer
      - .address_space:  global
        .offset:         72
        .size:           8
        .value_kind:     global_buffer
      - .address_space:  global
        .offset:         80
        .size:           8
        .value_kind:     global_buffer
      - .offset:         88
        .size:           8
        .value_kind:     by_value
      - .offset:         96
        .size:           8
        .value_kind:     by_value
      - .offset:         104
        .size:           4
        .value_kind:     hidden_block_count_x
      - .offset:         108
        .size:           4
        .value_kind:     hidden_block_count_y
      - .offset:         112
        .size:           4
        .value_kind:     hidden_block_count_z
      - .offset:         116
        .size:           2
        .value_kind:     hidden_group_size_x
      - .offset:         118
        .size:           2
        .value_kind:     hidden_group_size_y
      - .offset:         120
        .size:           2
        .value_kind:     hidden_group_size_z
      - .offset:         122
        .size:           2
        .value_kind:     hidden_remainder_x
      - .offset:         124
        .size:           2
        .value_kind:     hidden_remainder_y
      - .offset:         126
        .size:           2
        .value_kind:     hidden_remainder_z
      - .offset:         144
        .size:           8
        .value_kind:     hidden_global_offset_x
      - .offset:         152
        .size:           8
        .value_kind:     hidden_global_offset_y
      - .offset:         160
        .size:           8
        .value_kind:     hidden_global_offset_z
      - .offset:         168
        .size:           2
        .value_kind:     hidden_grid_dims
    .group_segment_fixed_size: 0
    .kernarg_segment_align: 8
    .kernarg_segment_size: 360
    .language:       OpenCL C
    .language_version:
      - 2
      - 0
    .max_flat_workgroup_size: 1024
    .name:           _ZN2at6native12_GLOBAL__N_137compute_grad_weight_atomic_accumulateIfflEEvPKT1_PKT_S5_llS5_PKlS5_S5_S5_PT0_ll
    .private_segment_fixed_size: 0
    .sgpr_count:     36
    .sgpr_spill_count: 0
    .symbol:         _ZN2at6native12_GLOBAL__N_137compute_grad_weight_atomic_accumulateIfflEEvPKT1_PKT_S5_llS5_PKlS5_S5_S5_PT0_ll.kd
    .uniform_work_group_size: 1
    .uses_dynamic_stack: false
    .vgpr_count:     23
    .vgpr_spill_count: 0
    .wavefront_size: 64
  - .agpr_count:     0
    .args:
      - .address_space:  global
        .offset:         0
        .size:           8
        .value_kind:     global_buffer
      - .address_space:  global
        .offset:         8
        .size:           8
        .value_kind:     global_buffer
      - .address_space:  global
        .offset:         16
        .size:           8
        .value_kind:     global_buffer
      - .address_space:  global
        .offset:         24
        .size:           8
        .value_kind:     global_buffer
      - .offset:         32
        .size:           8
        .value_kind:     by_value
      - .offset:         40
        .size:           8
        .value_kind:     by_value
      - .offset:         48
        .size:           4
        .value_kind:     by_value
      - .address_space:  global
        .offset:         56
        .size:           8
        .value_kind:     global_buffer
      - .address_space:  global
        .offset:         64
        .size:           8
        .value_kind:     global_buffer
      - .offset:         72
        .size:           8
        .value_kind:     by_value
      - .address_space:  global
        .offset:         80
        .size:           8
        .value_kind:     global_buffer
      - .address_space:  global
        .offset:         88
        .size:           8
        .value_kind:     global_buffer
      - .address_space:  global
        .offset:         96
        .size:           8
        .value_kind:     global_buffer
      - .offset:         104
        .size:           8
        .value_kind:     by_value
      - .offset:         112
        .size:           4
        .value_kind:     hidden_block_count_x
      - .offset:         116
        .size:           4
        .value_kind:     hidden_block_count_y
      - .offset:         120
        .size:           4
        .value_kind:     hidden_block_count_z
      - .offset:         124
        .size:           2
        .value_kind:     hidden_group_size_x
      - .offset:         126
        .size:           2
        .value_kind:     hidden_group_size_y
      - .offset:         128
        .size:           2
        .value_kind:     hidden_group_size_z
      - .offset:         130
        .size:           2
        .value_kind:     hidden_remainder_x
      - .offset:         132
        .size:           2
        .value_kind:     hidden_remainder_y
      - .offset:         134
        .size:           2
        .value_kind:     hidden_remainder_z
      - .offset:         152
        .size:           8
        .value_kind:     hidden_global_offset_x
      - .offset:         160
        .size:           8
        .value_kind:     hidden_global_offset_y
      - .offset:         168
        .size:           8
        .value_kind:     hidden_global_offset_z
      - .offset:         176
        .size:           2
        .value_kind:     hidden_grid_dims
    .group_segment_fixed_size: 0
    .kernarg_segment_align: 8
    .kernarg_segment_size: 368
    .language:       OpenCL C
    .language_version:
      - 2
      - 0
    .max_flat_workgroup_size: 1024
    .name:           _ZN2at6native12_GLOBAL__N_124compute_grad_weight_bagsIflEEvPKT0_PKT_S5_S5_lliS5_S8_lS5_PKlPNS_14AccumulateTypeIS6_Lb1EE4typeEl
    .private_segment_fixed_size: 0
    .sgpr_count:     36
    .sgpr_spill_count: 0
    .symbol:         _ZN2at6native12_GLOBAL__N_124compute_grad_weight_bagsIflEEvPKT0_PKT_S5_S5_lliS5_S8_lS5_PKlPNS_14AccumulateTypeIS6_Lb1EE4typeEl.kd
    .uniform_work_group_size: 1
    .uses_dynamic_stack: false
    .vgpr_count:     30
    .vgpr_spill_count: 0
    .wavefront_size: 64
  - .agpr_count:     0
    .args:
      - .address_space:  global
        .offset:         0
        .size:           8
        .value_kind:     global_buffer
      - .address_space:  global
        .offset:         8
        .size:           8
        .value_kind:     global_buffer
      - .address_space:  global
        .offset:         16
        .size:           8
        .value_kind:     global_buffer
      - .offset:         24
        .size:           8
        .value_kind:     by_value
      - .offset:         32
        .size:           8
        .value_kind:     by_value
      - .address_space:  global
        .offset:         40
        .size:           8
        .value_kind:     global_buffer
      - .address_space:  global
        .offset:         48
        .size:           8
        .value_kind:     global_buffer
      - .address_space:  global
        .offset:         56
        .size:           8
        .value_kind:     global_buffer
      - .offset:         64
        .size:           8
        .value_kind:     by_value
      - .offset:         72
        .size:           4
        .value_kind:     hidden_block_count_x
      - .offset:         76
        .size:           4
        .value_kind:     hidden_block_count_y
      - .offset:         80
        .size:           4
        .value_kind:     hidden_block_count_z
      - .offset:         84
        .size:           2
        .value_kind:     hidden_group_size_x
      - .offset:         86
        .size:           2
        .value_kind:     hidden_group_size_y
      - .offset:         88
        .size:           2
        .value_kind:     hidden_group_size_z
      - .offset:         90
        .size:           2
        .value_kind:     hidden_remainder_x
      - .offset:         92
        .size:           2
        .value_kind:     hidden_remainder_y
      - .offset:         94
        .size:           2
        .value_kind:     hidden_remainder_z
      - .offset:         112
        .size:           8
        .value_kind:     hidden_global_offset_x
      - .offset:         120
        .size:           8
        .value_kind:     hidden_global_offset_y
      - .offset:         128
        .size:           8
        .value_kind:     hidden_global_offset_z
      - .offset:         136
        .size:           2
        .value_kind:     hidden_grid_dims
    .group_segment_fixed_size: 0
    .kernarg_segment_align: 8
    .kernarg_segment_size: 328
    .language:       OpenCL C
    .language_version:
      - 2
      - 0
    .max_flat_workgroup_size: 1024
    .name:           _ZN2at6native12_GLOBAL__N_119compute_grad_weightIflEEvPKT0_PKT_S5_llS5_PKlPNS_14AccumulateTypeIS6_Lb1EE4typeEl
    .private_segment_fixed_size: 0
    .sgpr_count:     30
    .sgpr_spill_count: 0
    .symbol:         _ZN2at6native12_GLOBAL__N_119compute_grad_weightIflEEvPKT0_PKT_S5_llS5_PKlPNS_14AccumulateTypeIS6_Lb1EE4typeEl.kd
    .uniform_work_group_size: 1
    .uses_dynamic_stack: false
    .vgpr_count:     21
    .vgpr_spill_count: 0
    .wavefront_size: 64
  - .agpr_count:     0
    .args:
      - .address_space:  global
        .offset:         0
        .size:           8
        .value_kind:     global_buffer
      - .address_space:  global
        .offset:         8
        .size:           8
        .value_kind:     global_buffer
      - .offset:         16
        .size:           8
        .value_kind:     by_value
      - .address_space:  global
        .offset:         24
        .size:           8
        .value_kind:     global_buffer
      - .address_space:  global
        .offset:         32
        .size:           8
        .value_kind:     global_buffer
      - .address_space:  global
        .offset:         40
        .size:           8
        .value_kind:     global_buffer
      - .address_space:  global
        .offset:         48
        .size:           8
        .value_kind:     global_buffer
      - .address_space:  global
        .offset:         56
        .size:           8
        .value_kind:     global_buffer
      - .offset:         64
        .size:           8
        .value_kind:     by_value
      - .offset:         72
        .size:           8
        .value_kind:     by_value
      - .offset:         80
        .size:           4
        .value_kind:     hidden_block_count_x
      - .offset:         84
        .size:           4
        .value_kind:     hidden_block_count_y
      - .offset:         88
        .size:           4
        .value_kind:     hidden_block_count_z
      - .offset:         92
        .size:           2
        .value_kind:     hidden_group_size_x
      - .offset:         94
        .size:           2
        .value_kind:     hidden_group_size_y
      - .offset:         96
        .size:           2
        .value_kind:     hidden_group_size_z
      - .offset:         98
        .size:           2
        .value_kind:     hidden_remainder_x
      - .offset:         100
        .size:           2
        .value_kind:     hidden_remainder_y
      - .offset:         102
        .size:           2
        .value_kind:     hidden_remainder_z
      - .offset:         120
        .size:           8
        .value_kind:     hidden_global_offset_x
      - .offset:         128
        .size:           8
        .value_kind:     hidden_global_offset_y
      - .offset:         136
        .size:           8
        .value_kind:     hidden_global_offset_z
      - .offset:         144
        .size:           2
        .value_kind:     hidden_grid_dims
    .group_segment_fixed_size: 0
    .kernarg_segment_align: 8
    .kernarg_segment_size: 336
    .language:       OpenCL C
    .language_version:
      - 2
      - 0
    .max_flat_workgroup_size: 1024
    .name:           _ZN2at6native12_GLOBAL__N_115sum_and_scatterIflEEvPKT0_PT_lS5_PKlPKNS_14AccumulateTypeIS6_Lb1EE4typeES5_S9_ll
    .private_segment_fixed_size: 0
    .sgpr_count:     32
    .sgpr_spill_count: 0
    .symbol:         _ZN2at6native12_GLOBAL__N_115sum_and_scatterIflEEvPKT0_PT_lS5_PKlPKNS_14AccumulateTypeIS6_Lb1EE4typeES5_S9_ll.kd
    .uniform_work_group_size: 1
    .uses_dynamic_stack: false
    .vgpr_count:     14
    .vgpr_spill_count: 0
    .wavefront_size: 64
  - .agpr_count:     0
    .args:
      - .address_space:  global
        .offset:         0
        .size:           8
        .value_kind:     global_buffer
      - .address_space:  global
        .offset:         8
        .size:           8
        .value_kind:     global_buffer
      - .address_space:  global
        .offset:         16
        .size:           8
        .value_kind:     global_buffer
      - .offset:         24
        .size:           8
        .value_kind:     by_value
      - .offset:         32
        .size:           8
        .value_kind:     by_value
      - .address_space:  global
        .offset:         40
        .size:           8
        .value_kind:     global_buffer
      - .address_space:  global
        .offset:         48
        .size:           8
        .value_kind:     global_buffer
      - .address_space:  global
        .offset:         56
        .size:           8
        .value_kind:     global_buffer
      - .address_space:  global
        .offset:         64
        .size:           8
        .value_kind:     global_buffer
      - .address_space:  global
        .offset:         72
        .size:           8
        .value_kind:     global_buffer
      - .address_space:  global
        .offset:         80
        .size:           8
        .value_kind:     global_buffer
      - .offset:         88
        .size:           8
        .value_kind:     by_value
      - .offset:         96
        .size:           8
        .value_kind:     by_value
      - .offset:         104
        .size:           4
        .value_kind:     hidden_block_count_x
      - .offset:         108
        .size:           4
        .value_kind:     hidden_block_count_y
      - .offset:         112
        .size:           4
        .value_kind:     hidden_block_count_z
      - .offset:         116
        .size:           2
        .value_kind:     hidden_group_size_x
      - .offset:         118
        .size:           2
        .value_kind:     hidden_group_size_y
      - .offset:         120
        .size:           2
        .value_kind:     hidden_group_size_z
      - .offset:         122
        .size:           2
        .value_kind:     hidden_remainder_x
      - .offset:         124
        .size:           2
        .value_kind:     hidden_remainder_y
      - .offset:         126
        .size:           2
        .value_kind:     hidden_remainder_z
      - .offset:         144
        .size:           8
        .value_kind:     hidden_global_offset_x
      - .offset:         152
        .size:           8
        .value_kind:     hidden_global_offset_y
      - .offset:         160
        .size:           8
        .value_kind:     hidden_global_offset_z
      - .offset:         168
        .size:           2
        .value_kind:     hidden_grid_dims
    .group_segment_fixed_size: 0
    .kernarg_segment_align: 8
    .kernarg_segment_size: 360
    .language:       OpenCL C
    .language_version:
      - 2
      - 0
    .max_flat_workgroup_size: 1024
    .name:           _ZN2at6native12_GLOBAL__N_137compute_grad_weight_atomic_accumulateIN3c104HalfEflEEvPKT1_PKT_S7_llS7_PKlS7_S7_S7_PT0_ll
    .private_segment_fixed_size: 0
    .sgpr_count:     36
    .sgpr_spill_count: 0
    .symbol:         _ZN2at6native12_GLOBAL__N_137compute_grad_weight_atomic_accumulateIN3c104HalfEflEEvPKT1_PKT_S7_llS7_PKlS7_S7_S7_PT0_ll.kd
    .uniform_work_group_size: 1
    .uses_dynamic_stack: false
    .vgpr_count:     23
    .vgpr_spill_count: 0
    .wavefront_size: 64
  - .agpr_count:     0
    .args:
      - .address_space:  global
        .offset:         0
        .size:           8
        .value_kind:     global_buffer
      - .address_space:  global
        .offset:         8
        .size:           8
        .value_kind:     global_buffer
      - .address_space:  global
        .offset:         16
        .size:           8
        .value_kind:     global_buffer
      - .address_space:  global
        .offset:         24
        .size:           8
        .value_kind:     global_buffer
      - .offset:         32
        .size:           8
        .value_kind:     by_value
      - .offset:         40
        .size:           8
        .value_kind:     by_value
      - .offset:         48
        .size:           4
        .value_kind:     by_value
      - .address_space:  global
        .offset:         56
        .size:           8
        .value_kind:     global_buffer
      - .address_space:  global
        .offset:         64
        .size:           8
        .value_kind:     global_buffer
      - .offset:         72
        .size:           8
        .value_kind:     by_value
      - .address_space:  global
        .offset:         80
        .size:           8
        .value_kind:     global_buffer
      - .address_space:  global
        .offset:         88
        .size:           8
        .value_kind:     global_buffer
      - .address_space:  global
        .offset:         96
        .size:           8
        .value_kind:     global_buffer
      - .offset:         104
        .size:           8
        .value_kind:     by_value
      - .offset:         112
        .size:           4
        .value_kind:     hidden_block_count_x
      - .offset:         116
        .size:           4
        .value_kind:     hidden_block_count_y
      - .offset:         120
        .size:           4
        .value_kind:     hidden_block_count_z
      - .offset:         124
        .size:           2
        .value_kind:     hidden_group_size_x
      - .offset:         126
        .size:           2
        .value_kind:     hidden_group_size_y
      - .offset:         128
        .size:           2
        .value_kind:     hidden_group_size_z
      - .offset:         130
        .size:           2
        .value_kind:     hidden_remainder_x
      - .offset:         132
        .size:           2
        .value_kind:     hidden_remainder_y
      - .offset:         134
        .size:           2
        .value_kind:     hidden_remainder_z
      - .offset:         152
        .size:           8
        .value_kind:     hidden_global_offset_x
      - .offset:         160
        .size:           8
        .value_kind:     hidden_global_offset_y
      - .offset:         168
        .size:           8
        .value_kind:     hidden_global_offset_z
      - .offset:         176
        .size:           2
        .value_kind:     hidden_grid_dims
    .group_segment_fixed_size: 0
    .kernarg_segment_align: 8
    .kernarg_segment_size: 368
    .language:       OpenCL C
    .language_version:
      - 2
      - 0
    .max_flat_workgroup_size: 1024
    .name:           _ZN2at6native12_GLOBAL__N_124compute_grad_weight_bagsIN3c104HalfElEEvPKT0_PKT_S7_S7_lliS7_SA_lS7_PKlPNS_14AccumulateTypeIS8_Lb1EE4typeEl
    .private_segment_fixed_size: 0
    .sgpr_count:     36
    .sgpr_spill_count: 0
    .symbol:         _ZN2at6native12_GLOBAL__N_124compute_grad_weight_bagsIN3c104HalfElEEvPKT0_PKT_S7_S7_lliS7_SA_lS7_PKlPNS_14AccumulateTypeIS8_Lb1EE4typeEl.kd
    .uniform_work_group_size: 1
    .uses_dynamic_stack: false
    .vgpr_count:     30
    .vgpr_spill_count: 0
    .wavefront_size: 64
  - .agpr_count:     0
    .args:
      - .address_space:  global
        .offset:         0
        .size:           8
        .value_kind:     global_buffer
      - .address_space:  global
        .offset:         8
        .size:           8
        .value_kind:     global_buffer
      - .address_space:  global
        .offset:         16
        .size:           8
        .value_kind:     global_buffer
      - .offset:         24
        .size:           8
        .value_kind:     by_value
      - .offset:         32
        .size:           8
        .value_kind:     by_value
      - .address_space:  global
        .offset:         40
        .size:           8
        .value_kind:     global_buffer
      - .address_space:  global
        .offset:         48
        .size:           8
        .value_kind:     global_buffer
      - .address_space:  global
        .offset:         56
        .size:           8
        .value_kind:     global_buffer
      - .offset:         64
        .size:           8
        .value_kind:     by_value
      - .offset:         72
        .size:           4
        .value_kind:     hidden_block_count_x
      - .offset:         76
        .size:           4
        .value_kind:     hidden_block_count_y
      - .offset:         80
        .size:           4
        .value_kind:     hidden_block_count_z
      - .offset:         84
        .size:           2
        .value_kind:     hidden_group_size_x
      - .offset:         86
        .size:           2
        .value_kind:     hidden_group_size_y
      - .offset:         88
        .size:           2
        .value_kind:     hidden_group_size_z
      - .offset:         90
        .size:           2
        .value_kind:     hidden_remainder_x
      - .offset:         92
        .size:           2
        .value_kind:     hidden_remainder_y
      - .offset:         94
        .size:           2
        .value_kind:     hidden_remainder_z
      - .offset:         112
        .size:           8
        .value_kind:     hidden_global_offset_x
      - .offset:         120
        .size:           8
        .value_kind:     hidden_global_offset_y
      - .offset:         128
        .size:           8
        .value_kind:     hidden_global_offset_z
      - .offset:         136
        .size:           2
        .value_kind:     hidden_grid_dims
    .group_segment_fixed_size: 0
    .kernarg_segment_align: 8
    .kernarg_segment_size: 328
    .language:       OpenCL C
    .language_version:
      - 2
      - 0
    .max_flat_workgroup_size: 1024
    .name:           _ZN2at6native12_GLOBAL__N_119compute_grad_weightIN3c104HalfElEEvPKT0_PKT_S7_llS7_PKlPNS_14AccumulateTypeIS8_Lb1EE4typeEl
    .private_segment_fixed_size: 0
    .sgpr_count:     30
    .sgpr_spill_count: 0
    .symbol:         _ZN2at6native12_GLOBAL__N_119compute_grad_weightIN3c104HalfElEEvPKT0_PKT_S7_llS7_PKlPNS_14AccumulateTypeIS8_Lb1EE4typeEl.kd
    .uniform_work_group_size: 1
    .uses_dynamic_stack: false
    .vgpr_count:     21
    .vgpr_spill_count: 0
    .wavefront_size: 64
  - .agpr_count:     0
    .args:
      - .address_space:  global
        .offset:         0
        .size:           8
        .value_kind:     global_buffer
      - .address_space:  global
        .offset:         8
        .size:           8
        .value_kind:     global_buffer
      - .offset:         16
        .size:           8
        .value_kind:     by_value
      - .address_space:  global
        .offset:         24
        .size:           8
        .value_kind:     global_buffer
      - .address_space:  global
        .offset:         32
        .size:           8
        .value_kind:     global_buffer
      - .address_space:  global
        .offset:         40
        .size:           8
        .value_kind:     global_buffer
      - .address_space:  global
        .offset:         48
        .size:           8
        .value_kind:     global_buffer
      - .address_space:  global
        .offset:         56
        .size:           8
        .value_kind:     global_buffer
      - .offset:         64
        .size:           8
        .value_kind:     by_value
      - .offset:         72
        .size:           8
        .value_kind:     by_value
      - .offset:         80
        .size:           4
        .value_kind:     hidden_block_count_x
      - .offset:         84
        .size:           4
        .value_kind:     hidden_block_count_y
      - .offset:         88
        .size:           4
        .value_kind:     hidden_block_count_z
      - .offset:         92
        .size:           2
        .value_kind:     hidden_group_size_x
      - .offset:         94
        .size:           2
        .value_kind:     hidden_group_size_y
      - .offset:         96
        .size:           2
        .value_kind:     hidden_group_size_z
      - .offset:         98
        .size:           2
        .value_kind:     hidden_remainder_x
      - .offset:         100
        .size:           2
        .value_kind:     hidden_remainder_y
      - .offset:         102
        .size:           2
        .value_kind:     hidden_remainder_z
      - .offset:         120
        .size:           8
        .value_kind:     hidden_global_offset_x
      - .offset:         128
        .size:           8
        .value_kind:     hidden_global_offset_y
      - .offset:         136
        .size:           8
        .value_kind:     hidden_global_offset_z
      - .offset:         144
        .size:           2
        .value_kind:     hidden_grid_dims
    .group_segment_fixed_size: 0
    .kernarg_segment_align: 8
    .kernarg_segment_size: 336
    .language:       OpenCL C
    .language_version:
      - 2
      - 0
    .max_flat_workgroup_size: 1024
    .name:           _ZN2at6native12_GLOBAL__N_115sum_and_scatterIN3c104HalfElEEvPKT0_PT_lS7_PKlPKNS_14AccumulateTypeIS8_Lb1EE4typeES7_SB_ll
    .private_segment_fixed_size: 0
    .sgpr_count:     32
    .sgpr_spill_count: 0
    .symbol:         _ZN2at6native12_GLOBAL__N_115sum_and_scatterIN3c104HalfElEEvPKT0_PT_lS7_PKlPKNS_14AccumulateTypeIS8_Lb1EE4typeES7_SB_ll.kd
    .uniform_work_group_size: 1
    .uses_dynamic_stack: false
    .vgpr_count:     14
    .vgpr_spill_count: 0
    .wavefront_size: 64
  - .agpr_count:     0
    .args:
      - .address_space:  global
        .offset:         0
        .size:           8
        .value_kind:     global_buffer
      - .address_space:  global
        .offset:         8
        .size:           8
        .value_kind:     global_buffer
      - .address_space:  global
        .offset:         16
        .size:           8
        .value_kind:     global_buffer
      - .offset:         24
        .size:           8
        .value_kind:     by_value
      - .offset:         32
        .size:           8
        .value_kind:     by_value
      - .address_space:  global
        .offset:         40
        .size:           8
        .value_kind:     global_buffer
      - .address_space:  global
        .offset:         48
        .size:           8
        .value_kind:     global_buffer
      - .address_space:  global
        .offset:         56
        .size:           8
        .value_kind:     global_buffer
      - .address_space:  global
        .offset:         64
        .size:           8
        .value_kind:     global_buffer
      - .address_space:  global
        .offset:         72
        .size:           8
        .value_kind:     global_buffer
      - .address_space:  global
        .offset:         80
        .size:           8
        .value_kind:     global_buffer
      - .offset:         88
        .size:           8
        .value_kind:     by_value
      - .offset:         96
        .size:           8
        .value_kind:     by_value
      - .offset:         104
        .size:           4
        .value_kind:     hidden_block_count_x
      - .offset:         108
        .size:           4
        .value_kind:     hidden_block_count_y
      - .offset:         112
        .size:           4
        .value_kind:     hidden_block_count_z
      - .offset:         116
        .size:           2
        .value_kind:     hidden_group_size_x
      - .offset:         118
        .size:           2
        .value_kind:     hidden_group_size_y
      - .offset:         120
        .size:           2
        .value_kind:     hidden_group_size_z
      - .offset:         122
        .size:           2
        .value_kind:     hidden_remainder_x
      - .offset:         124
        .size:           2
        .value_kind:     hidden_remainder_y
      - .offset:         126
        .size:           2
        .value_kind:     hidden_remainder_z
      - .offset:         144
        .size:           8
        .value_kind:     hidden_global_offset_x
      - .offset:         152
        .size:           8
        .value_kind:     hidden_global_offset_y
      - .offset:         160
        .size:           8
        .value_kind:     hidden_global_offset_z
      - .offset:         168
        .size:           2
        .value_kind:     hidden_grid_dims
    .group_segment_fixed_size: 0
    .kernarg_segment_align: 8
    .kernarg_segment_size: 360
    .language:       OpenCL C
    .language_version:
      - 2
      - 0
    .max_flat_workgroup_size: 1024
    .name:           _ZN2at6native12_GLOBAL__N_137compute_grad_weight_atomic_accumulateIN3c108BFloat16EflEEvPKT1_PKT_S7_llS7_PKlS7_S7_S7_PT0_ll
    .private_segment_fixed_size: 0
    .sgpr_count:     36
    .sgpr_spill_count: 0
    .symbol:         _ZN2at6native12_GLOBAL__N_137compute_grad_weight_atomic_accumulateIN3c108BFloat16EflEEvPKT1_PKT_S7_llS7_PKlS7_S7_S7_PT0_ll.kd
    .uniform_work_group_size: 1
    .uses_dynamic_stack: false
    .vgpr_count:     23
    .vgpr_spill_count: 0
    .wavefront_size: 64
  - .agpr_count:     0
    .args:
      - .address_space:  global
        .offset:         0
        .size:           8
        .value_kind:     global_buffer
      - .address_space:  global
        .offset:         8
        .size:           8
        .value_kind:     global_buffer
      - .address_space:  global
        .offset:         16
        .size:           8
        .value_kind:     global_buffer
      - .address_space:  global
        .offset:         24
        .size:           8
        .value_kind:     global_buffer
      - .offset:         32
        .size:           8
        .value_kind:     by_value
      - .offset:         40
        .size:           8
        .value_kind:     by_value
      - .offset:         48
        .size:           4
        .value_kind:     by_value
      - .address_space:  global
        .offset:         56
        .size:           8
        .value_kind:     global_buffer
      - .address_space:  global
        .offset:         64
        .size:           8
        .value_kind:     global_buffer
      - .offset:         72
        .size:           8
        .value_kind:     by_value
      - .address_space:  global
        .offset:         80
        .size:           8
        .value_kind:     global_buffer
      - .address_space:  global
        .offset:         88
        .size:           8
        .value_kind:     global_buffer
      - .address_space:  global
        .offset:         96
        .size:           8
        .value_kind:     global_buffer
      - .offset:         104
        .size:           8
        .value_kind:     by_value
      - .offset:         112
        .size:           4
        .value_kind:     hidden_block_count_x
      - .offset:         116
        .size:           4
        .value_kind:     hidden_block_count_y
      - .offset:         120
        .size:           4
        .value_kind:     hidden_block_count_z
      - .offset:         124
        .size:           2
        .value_kind:     hidden_group_size_x
      - .offset:         126
        .size:           2
        .value_kind:     hidden_group_size_y
      - .offset:         128
        .size:           2
        .value_kind:     hidden_group_size_z
      - .offset:         130
        .size:           2
        .value_kind:     hidden_remainder_x
      - .offset:         132
        .size:           2
        .value_kind:     hidden_remainder_y
      - .offset:         134
        .size:           2
        .value_kind:     hidden_remainder_z
      - .offset:         152
        .size:           8
        .value_kind:     hidden_global_offset_x
      - .offset:         160
        .size:           8
        .value_kind:     hidden_global_offset_y
      - .offset:         168
        .size:           8
        .value_kind:     hidden_global_offset_z
      - .offset:         176
        .size:           2
        .value_kind:     hidden_grid_dims
    .group_segment_fixed_size: 0
    .kernarg_segment_align: 8
    .kernarg_segment_size: 368
    .language:       OpenCL C
    .language_version:
      - 2
      - 0
    .max_flat_workgroup_size: 1024
    .name:           _ZN2at6native12_GLOBAL__N_124compute_grad_weight_bagsIN3c108BFloat16ElEEvPKT0_PKT_S7_S7_lliS7_SA_lS7_PKlPNS_14AccumulateTypeIS8_Lb1EE4typeEl
    .private_segment_fixed_size: 0
    .sgpr_count:     36
    .sgpr_spill_count: 0
    .symbol:         _ZN2at6native12_GLOBAL__N_124compute_grad_weight_bagsIN3c108BFloat16ElEEvPKT0_PKT_S7_S7_lliS7_SA_lS7_PKlPNS_14AccumulateTypeIS8_Lb1EE4typeEl.kd
    .uniform_work_group_size: 1
    .uses_dynamic_stack: false
    .vgpr_count:     30
    .vgpr_spill_count: 0
    .wavefront_size: 64
  - .agpr_count:     0
    .args:
      - .address_space:  global
        .offset:         0
        .size:           8
        .value_kind:     global_buffer
      - .address_space:  global
        .offset:         8
        .size:           8
        .value_kind:     global_buffer
      - .address_space:  global
        .offset:         16
        .size:           8
        .value_kind:     global_buffer
      - .offset:         24
        .size:           8
        .value_kind:     by_value
      - .offset:         32
        .size:           8
        .value_kind:     by_value
      - .address_space:  global
        .offset:         40
        .size:           8
        .value_kind:     global_buffer
      - .address_space:  global
        .offset:         48
        .size:           8
        .value_kind:     global_buffer
      - .address_space:  global
        .offset:         56
        .size:           8
        .value_kind:     global_buffer
      - .offset:         64
        .size:           8
        .value_kind:     by_value
      - .offset:         72
        .size:           4
        .value_kind:     hidden_block_count_x
      - .offset:         76
        .size:           4
        .value_kind:     hidden_block_count_y
      - .offset:         80
        .size:           4
        .value_kind:     hidden_block_count_z
      - .offset:         84
        .size:           2
        .value_kind:     hidden_group_size_x
      - .offset:         86
        .size:           2
        .value_kind:     hidden_group_size_y
      - .offset:         88
        .size:           2
        .value_kind:     hidden_group_size_z
      - .offset:         90
        .size:           2
        .value_kind:     hidden_remainder_x
      - .offset:         92
        .size:           2
        .value_kind:     hidden_remainder_y
      - .offset:         94
        .size:           2
        .value_kind:     hidden_remainder_z
      - .offset:         112
        .size:           8
        .value_kind:     hidden_global_offset_x
      - .offset:         120
        .size:           8
        .value_kind:     hidden_global_offset_y
      - .offset:         128
        .size:           8
        .value_kind:     hidden_global_offset_z
      - .offset:         136
        .size:           2
        .value_kind:     hidden_grid_dims
    .group_segment_fixed_size: 0
    .kernarg_segment_align: 8
    .kernarg_segment_size: 328
    .language:       OpenCL C
    .language_version:
      - 2
      - 0
    .max_flat_workgroup_size: 1024
    .name:           _ZN2at6native12_GLOBAL__N_119compute_grad_weightIN3c108BFloat16ElEEvPKT0_PKT_S7_llS7_PKlPNS_14AccumulateTypeIS8_Lb1EE4typeEl
    .private_segment_fixed_size: 0
    .sgpr_count:     30
    .sgpr_spill_count: 0
    .symbol:         _ZN2at6native12_GLOBAL__N_119compute_grad_weightIN3c108BFloat16ElEEvPKT0_PKT_S7_llS7_PKlPNS_14AccumulateTypeIS8_Lb1EE4typeEl.kd
    .uniform_work_group_size: 1
    .uses_dynamic_stack: false
    .vgpr_count:     21
    .vgpr_spill_count: 0
    .wavefront_size: 64
  - .agpr_count:     0
    .args:
      - .address_space:  global
        .offset:         0
        .size:           8
        .value_kind:     global_buffer
      - .address_space:  global
        .offset:         8
        .size:           8
        .value_kind:     global_buffer
      - .offset:         16
        .size:           8
        .value_kind:     by_value
      - .address_space:  global
        .offset:         24
        .size:           8
        .value_kind:     global_buffer
      - .address_space:  global
        .offset:         32
        .size:           8
        .value_kind:     global_buffer
      - .address_space:  global
        .offset:         40
        .size:           8
        .value_kind:     global_buffer
      - .address_space:  global
        .offset:         48
        .size:           8
        .value_kind:     global_buffer
      - .address_space:  global
        .offset:         56
        .size:           8
        .value_kind:     global_buffer
      - .offset:         64
        .size:           8
        .value_kind:     by_value
      - .offset:         72
        .size:           8
        .value_kind:     by_value
      - .offset:         80
        .size:           4
        .value_kind:     hidden_block_count_x
      - .offset:         84
        .size:           4
        .value_kind:     hidden_block_count_y
      - .offset:         88
        .size:           4
        .value_kind:     hidden_block_count_z
      - .offset:         92
        .size:           2
        .value_kind:     hidden_group_size_x
      - .offset:         94
        .size:           2
        .value_kind:     hidden_group_size_y
      - .offset:         96
        .size:           2
        .value_kind:     hidden_group_size_z
      - .offset:         98
        .size:           2
        .value_kind:     hidden_remainder_x
      - .offset:         100
        .size:           2
        .value_kind:     hidden_remainder_y
      - .offset:         102
        .size:           2
        .value_kind:     hidden_remainder_z
      - .offset:         120
        .size:           8
        .value_kind:     hidden_global_offset_x
      - .offset:         128
        .size:           8
        .value_kind:     hidden_global_offset_y
      - .offset:         136
        .size:           8
        .value_kind:     hidden_global_offset_z
      - .offset:         144
        .size:           2
        .value_kind:     hidden_grid_dims
    .group_segment_fixed_size: 0
    .kernarg_segment_align: 8
    .kernarg_segment_size: 336
    .language:       OpenCL C
    .language_version:
      - 2
      - 0
    .max_flat_workgroup_size: 1024
    .name:           _ZN2at6native12_GLOBAL__N_115sum_and_scatterIN3c108BFloat16ElEEvPKT0_PT_lS7_PKlPKNS_14AccumulateTypeIS8_Lb1EE4typeES7_SB_ll
    .private_segment_fixed_size: 0
    .sgpr_count:     32
    .sgpr_spill_count: 0
    .symbol:         _ZN2at6native12_GLOBAL__N_115sum_and_scatterIN3c108BFloat16ElEEvPKT0_PT_lS7_PKlPKNS_14AccumulateTypeIS8_Lb1EE4typeES7_SB_ll.kd
    .uniform_work_group_size: 1
    .uses_dynamic_stack: false
    .vgpr_count:     14
    .vgpr_spill_count: 0
    .wavefront_size: 64
amdhsa.target:   amdgcn-amd-amdhsa--gfx90a
amdhsa.version:
  - 1
  - 2
...

	.end_amdgpu_metadata
